;; amdgpu-corpus repo=ROCm/rocFFT kind=compiled arch=gfx1201 opt=O3
	.text
	.amdgcn_target "amdgcn-amd-amdhsa--gfx1201"
	.amdhsa_code_object_version 6
	.protected	bluestein_single_back_len143_dim1_sp_op_CI_CI ; -- Begin function bluestein_single_back_len143_dim1_sp_op_CI_CI
	.globl	bluestein_single_back_len143_dim1_sp_op_CI_CI
	.p2align	8
	.type	bluestein_single_back_len143_dim1_sp_op_CI_CI,@function
bluestein_single_back_len143_dim1_sp_op_CI_CI: ; @bluestein_single_back_len143_dim1_sp_op_CI_CI
; %bb.0:
	s_load_b128 s[8:11], s[0:1], 0x28
	v_mul_u32_u24_e32 v1, 0x13b2, v0
	s_mov_b32 s2, exec_lo
	s_delay_alu instid0(VALU_DEP_1) | instskip(NEXT) | instid1(VALU_DEP_1)
	v_lshrrev_b32_e32 v1, 16, v1
	v_mad_co_u64_u32 v[44:45], null, ttmp9, 14, v[1:2]
	v_mov_b32_e32 v45, 0
	s_wait_kmcnt 0x0
	s_delay_alu instid0(VALU_DEP_1)
	v_cmpx_gt_u64_e64 s[8:9], v[44:45]
	s_cbranch_execz .LBB0_15
; %bb.1:
	v_lshrrev_b32_e32 v2, 1, v44
	v_mul_lo_u16 v1, v1, 13
	s_clause 0x1
	s_load_b64 s[8:9], s[0:1], 0x0
	s_load_b64 s[12:13], s[0:1], 0x38
	v_mul_hi_u32 v2, 0x92492493, v2
	v_sub_nc_u16 v0, v0, v1
	s_delay_alu instid0(VALU_DEP_1) | instskip(SKIP_1) | instid1(VALU_DEP_4)
	v_and_b32_e32 v54, 0xffff, v0
	v_cmp_gt_u16_e32 vcc_lo, 11, v0
	v_lshrrev_b32_e32 v2, 2, v2
	s_delay_alu instid0(VALU_DEP_3) | instskip(NEXT) | instid1(VALU_DEP_2)
	v_lshlrev_b32_e32 v53, 3, v54
	v_mul_lo_u32 v2, v2, 14
	s_delay_alu instid0(VALU_DEP_1) | instskip(NEXT) | instid1(VALU_DEP_1)
	v_sub_nc_u32_e32 v1, v44, v2
	v_mul_u32_u24_e32 v30, 0x8f, v1
	s_delay_alu instid0(VALU_DEP_1)
	v_lshlrev_b32_e32 v55, 3, v30
	s_and_saveexec_b32 s3, vcc_lo
	s_cbranch_execz .LBB0_3
; %bb.2:
	s_load_b64 s[4:5], s[0:1], 0x18
	s_delay_alu instid0(VALU_DEP_1)
	v_lshl_add_u32 v43, v54, 3, v55
	v_add_nc_u32_e32 v60, v55, v53
	s_wait_kmcnt 0x0
	s_load_b128 s[4:7], s[4:5], 0x0
	s_wait_kmcnt 0x0
	v_mad_co_u64_u32 v[0:1], null, s6, v44, 0
	v_mad_co_u64_u32 v[2:3], null, s4, v54, 0
	s_delay_alu instid0(VALU_DEP_1) | instskip(NEXT) | instid1(VALU_DEP_1)
	v_mad_co_u64_u32 v[4:5], null, s7, v44, v[1:2]
	v_mad_co_u64_u32 v[5:6], null, s5, v54, v[3:4]
	v_mov_b32_e32 v1, v4
	s_mul_u64 s[4:5], s[4:5], 0x58
	s_delay_alu instid0(VALU_DEP_1) | instskip(NEXT) | instid1(VALU_DEP_3)
	v_lshlrev_b64_e32 v[0:1], 3, v[0:1]
	v_mov_b32_e32 v3, v5
	s_delay_alu instid0(VALU_DEP_2) | instskip(NEXT) | instid1(VALU_DEP_2)
	v_add_co_u32 v10, s2, s10, v0
	v_lshlrev_b64_e32 v[2:3], 3, v[2:3]
	s_delay_alu instid0(VALU_DEP_4)
	v_add_co_ci_u32_e64 v11, s2, s11, v1, s2
	s_clause 0xa
	global_load_b64 v[0:1], v53, s[8:9]
	global_load_b64 v[4:5], v53, s[8:9] offset:88
	global_load_b64 v[6:7], v53, s[8:9] offset:176
	;; [unrolled: 1-line block ×10, first 2 shown]
	v_add_co_u32 v2, s2, v10, v2
	s_wait_alu 0xf1ff
	v_add_co_ci_u32_e64 v3, s2, v11, v3, s2
	s_wait_alu 0xfffe
	s_delay_alu instid0(VALU_DEP_2) | instskip(SKIP_1) | instid1(VALU_DEP_2)
	v_add_co_u32 v10, s2, v2, s4
	s_wait_alu 0xf1ff
	v_add_co_ci_u32_e64 v11, s2, s5, v3, s2
	global_load_b64 v[2:3], v[2:3], off
	v_add_co_u32 v20, s2, v10, s4
	s_wait_alu 0xf1ff
	v_add_co_ci_u32_e64 v21, s2, s5, v11, s2
	s_delay_alu instid0(VALU_DEP_2) | instskip(SKIP_1) | instid1(VALU_DEP_2)
	v_add_co_u32 v28, s2, v20, s4
	s_wait_alu 0xf1ff
	v_add_co_ci_u32_e64 v29, s2, s5, v21, s2
	s_delay_alu instid0(VALU_DEP_2) | instskip(SKIP_1) | instid1(VALU_DEP_2)
	v_add_co_u32 v31, s2, v28, s4
	s_wait_alu 0xf1ff
	v_add_co_ci_u32_e64 v32, s2, s5, v29, s2
	s_clause 0x2
	global_load_b64 v[10:11], v[10:11], off
	global_load_b64 v[20:21], v[20:21], off
	;; [unrolled: 1-line block ×3, first 2 shown]
	v_add_co_u32 v33, s2, v31, s4
	s_wait_alu 0xf1ff
	v_add_co_ci_u32_e64 v34, s2, s5, v32, s2
	global_load_b64 v[31:32], v[31:32], off
	v_add_co_u32 v35, s2, v33, s4
	s_wait_alu 0xf1ff
	v_add_co_ci_u32_e64 v36, s2, s5, v34, s2
	global_load_b64 v[33:34], v[33:34], off
	;; [unrolled: 4-line block ×7, first 2 shown]
	v_add_co_u32 v49, s2, v47, s4
	s_wait_alu 0xf1ff
	v_add_co_ci_u32_e64 v50, s2, s5, v48, s2
	global_load_b64 v[51:52], v53, s[8:9] offset:968
	global_load_b64 v[47:48], v[47:48], off
	global_load_b64 v[56:57], v53, s[8:9] offset:1056
	global_load_b64 v[49:50], v[49:50], off
	s_wait_loadcnt 0xe
	v_mul_f32_e32 v58, v3, v1
	v_mul_f32_e32 v59, v2, v1
	s_delay_alu instid0(VALU_DEP_2) | instskip(NEXT) | instid1(VALU_DEP_2)
	v_fmac_f32_e32 v58, v2, v0
	v_fma_f32 v59, v3, v0, -v59
	ds_store_b64 v43, v[58:59]
	s_wait_loadcnt 0xd
	v_mul_f32_e32 v1, v11, v5
	s_wait_loadcnt 0xc
	v_dual_mul_f32 v2, v10, v5 :: v_dual_mul_f32 v5, v21, v7
	s_wait_loadcnt 0xb
	v_dual_mul_f32 v7, v20, v7 :: v_dual_mul_f32 v0, v29, v9
	v_fmac_f32_e32 v1, v10, v4
	s_delay_alu instid0(VALU_DEP_3) | instskip(SKIP_1) | instid1(VALU_DEP_4)
	v_fma_f32 v2, v11, v4, -v2
	v_fmac_f32_e32 v5, v20, v6
	v_fma_f32 v6, v21, v6, -v7
	v_fmac_f32_e32 v0, v28, v8
	s_wait_loadcnt 0x9
	v_dual_mul_f32 v4, v34, v15 :: v_dual_mul_f32 v3, v28, v9
	ds_store_2addr_b64 v60, v[1:2], v[5:6] offset0:11 offset1:22
	v_mul_f32_e32 v5, v31, v13
	v_mul_f32_e32 v2, v32, v13
	v_fmac_f32_e32 v4, v33, v14
	v_fma_f32 v1, v29, v8, -v3
	s_wait_loadcnt 0x7
	v_dual_mul_f32 v6, v36, v17 :: v_dual_mul_f32 v9, v37, v19
	v_mul_f32_e32 v8, v38, v19
	v_fma_f32 v3, v32, v12, -v5
	v_mul_f32_e32 v5, v33, v15
	s_wait_loadcnt 0x6
	v_dual_mul_f32 v7, v35, v17 :: v_dual_mul_f32 v10, v40, v23
	v_mul_f32_e32 v11, v39, v23
	v_fmac_f32_e32 v2, v31, v12
	v_fma_f32 v5, v34, v14, -v5
	s_wait_loadcnt 0x5
	v_dual_fmac_f32 v6, v35, v16 :: v_dual_mul_f32 v13, v41, v25
	v_mul_f32_e32 v12, v42, v25
	v_fmac_f32_e32 v8, v37, v18
	v_fma_f32 v7, v36, v16, -v7
	v_fma_f32 v9, v38, v18, -v9
	s_wait_loadcnt 0x4
	v_mul_f32_e32 v14, v46, v27
	v_mul_f32_e32 v15, v45, v27
	v_fma_f32 v11, v40, v22, -v11
	s_wait_loadcnt 0x2
	v_mul_f32_e32 v17, v47, v52
	v_fmac_f32_e32 v10, v39, v22
	v_mul_f32_e32 v16, v48, v52
	s_wait_loadcnt 0x0
	v_mul_f32_e32 v18, v50, v57
	v_mul_f32_e32 v19, v49, v57
	v_fmac_f32_e32 v12, v41, v24
	v_fma_f32 v13, v42, v24, -v13
	v_fmac_f32_e32 v14, v45, v26
	v_fma_f32 v15, v46, v26, -v15
	v_fmac_f32_e32 v16, v47, v51
	v_fma_f32 v17, v48, v51, -v17
	v_fmac_f32_e32 v18, v49, v56
	v_fma_f32 v19, v50, v56, -v19
	ds_store_2addr_b64 v60, v[0:1], v[2:3] offset0:33 offset1:44
	ds_store_2addr_b64 v60, v[4:5], v[6:7] offset0:55 offset1:66
	;; [unrolled: 1-line block ×5, first 2 shown]
.LBB0_3:
	s_or_b32 exec_lo, exec_lo, s3
	s_clause 0x1
	s_load_b64 s[2:3], s[0:1], 0x20
	s_load_b64 s[4:5], s[0:1], 0x8
	v_mov_b32_e32 v4, 0
	v_mov_b32_e32 v5, 0
	global_wb scope:SCOPE_SE
	s_wait_dscnt 0x0
	s_wait_kmcnt 0x0
	s_barrier_signal -1
	s_barrier_wait -1
	global_inv scope:SCOPE_SE
                                        ; implicit-def: $vgpr18
                                        ; implicit-def: $vgpr12
                                        ; implicit-def: $vgpr8
                                        ; implicit-def: $vgpr0
                                        ; implicit-def: $vgpr22
                                        ; implicit-def: $vgpr26
	s_and_saveexec_b32 s0, vcc_lo
	s_cbranch_execz .LBB0_5
; %bb.4:
	v_lshl_add_u32 v0, v30, 3, v53
	ds_load_2addr_b64 v[4:7], v0 offset1:11
	ds_load_2addr_b64 v[24:27], v0 offset0:22 offset1:33
	ds_load_2addr_b64 v[20:23], v0 offset0:44 offset1:55
	;; [unrolled: 1-line block ×5, first 2 shown]
	ds_load_b64 v[0:1], v0 offset:1056
.LBB0_5:
	s_wait_alu 0xfffe
	s_or_b32 exec_lo, exec_lo, s0
	s_wait_dscnt 0x0
	v_dual_sub_f32 v66, v7, v1 :: v_dual_sub_f32 v75, v6, v0
	v_add_f32_e32 v31, v0, v6
	v_dual_add_f32 v33, v1, v7 :: v_dual_add_f32 v32, v10, v24
	s_delay_alu instid0(VALU_DEP_3) | instskip(SKIP_3) | instid1(VALU_DEP_3)
	v_mul_f32_e32 v43, 0xbeedf032, v66
	v_dual_sub_f32 v74, v24, v10 :: v_dual_sub_f32 v73, v25, v11
	v_dual_mul_f32 v58, 0xbf52af12, v66 :: v_dual_mul_f32 v61, 0xbf52af12, v75
	v_mul_f32_e32 v48, 0xbeedf032, v75
	v_dual_mul_f32 v50, 0xbf52af12, v74 :: v_dual_mul_f32 v47, 0xbf52af12, v73
	s_delay_alu instid0(VALU_DEP_3) | instskip(NEXT) | instid1(VALU_DEP_4)
	v_fmamk_f32 v28, v31, 0x3f116cb1, v58
	v_fma_f32 v29, 0x3f116cb1, v33, -v61
	v_fmamk_f32 v2, v31, 0x3f62ad3f, v43
	v_fma_f32 v3, 0x3f62ad3f, v33, -v48
	v_dual_fmamk_f32 v35, v32, 0x3f116cb1, v47 :: v_dual_add_f32 v34, v11, v25
	v_mul_f32_e32 v67, 0xbf6f5d39, v74
	s_delay_alu instid0(VALU_DEP_4) | instskip(SKIP_3) | instid1(VALU_DEP_4)
	v_dual_add_f32 v29, v29, v5 :: v_dual_add_f32 v2, v2, v4
	v_mul_f32_e32 v63, 0xbf6f5d39, v73
	v_sub_f32_e32 v77, v27, v9
	v_dual_add_f32 v3, v3, v5 :: v_dual_add_f32 v28, v28, v4
	v_add_f32_e32 v2, v35, v2
	v_dual_add_f32 v35, v8, v26 :: v_dual_add_f32 v36, v9, v27
	v_fmamk_f32 v38, v32, 0xbeb58ec6, v63
	v_mul_f32_e32 v49, 0xbf7e222b, v77
	v_fma_f32 v37, 0x3f116cb1, v34, -v50
	v_fma_f32 v39, 0xbeb58ec6, v34, -v67
	v_dual_sub_f32 v82, v21, v15 :: v_dual_mul_f32 v65, 0xbe750f2a, v77
	v_add_f32_e32 v28, v38, v28
	v_dual_sub_f32 v81, v26, v8 :: v_dual_fmamk_f32 v40, v35, 0x3df6dbef, v49
	v_add_f32_e32 v3, v37, v3
	v_add_f32_e32 v29, v39, v29
	s_delay_alu instid0(VALU_DEP_3) | instskip(NEXT) | instid1(VALU_DEP_4)
	v_dual_add_f32 v37, v14, v20 :: v_dual_mul_f32 v52, 0xbf7e222b, v81
	v_add_f32_e32 v2, v40, v2
	v_fmamk_f32 v40, v35, 0xbf788fa5, v65
	v_mul_f32_e32 v71, 0xbe750f2a, v81
	v_dual_sub_f32 v83, v20, v14 :: v_dual_add_f32 v38, v15, v21
	v_fma_f32 v39, 0x3df6dbef, v36, -v52
	v_dual_mul_f32 v51, 0xbf6f5d39, v82 :: v_dual_sub_f32 v84, v23, v13
	v_add_f32_e32 v28, v40, v28
	v_fma_f32 v41, 0xbf788fa5, v36, -v71
	s_delay_alu instid0(VALU_DEP_3) | instskip(SKIP_1) | instid1(VALU_DEP_3)
	v_dual_add_f32 v3, v39, v3 :: v_dual_fmamk_f32 v42, v37, 0xbeb58ec6, v51
	v_mul_f32_e32 v57, 0xbf6f5d39, v83
	v_dual_mul_f32 v76, 0x3f29c268, v83 :: v_dual_add_f32 v29, v41, v29
	v_dual_mul_f32 v69, 0x3f29c268, v82 :: v_dual_add_f32 v40, v13, v23
	s_delay_alu instid0(VALU_DEP_4) | instskip(NEXT) | instid1(VALU_DEP_4)
	v_add_f32_e32 v2, v42, v2
	v_fma_f32 v39, 0xbeb58ec6, v38, -v57
	s_delay_alu instid0(VALU_DEP_4) | instskip(SKIP_3) | instid1(VALU_DEP_4)
	v_fma_f32 v42, 0xbf3f9e67, v38, -v76
	v_mul_f32_e32 v72, 0x3f7e222b, v84
	v_mul_f32_e32 v59, 0xbf29c268, v84
	v_dual_sub_f32 v87, v16, v18 :: v_dual_sub_f32 v86, v17, v19
	v_add_f32_e32 v29, v42, v29
	v_dual_add_f32 v42, v19, v17 :: v_dual_sub_f32 v85, v22, v12
	v_add_f32_e32 v3, v39, v3
	v_add_f32_e32 v39, v12, v22
	v_mul_f32_e32 v62, 0xbe750f2a, v86
	v_dual_mul_f32 v78, 0x3eedf032, v86 :: v_dual_mul_f32 v79, 0x3eedf032, v87
	global_wb scope:SCOPE_SE
	v_fmamk_f32 v46, v39, 0x3df6dbef, v72
	v_fmamk_f32 v41, v37, 0xbf3f9e67, v69
	v_mul_f32_e32 v60, 0xbf29c268, v85
	v_fma_f32 v68, 0x3f62ad3f, v42, -v79
	s_barrier_signal -1
	s_barrier_wait -1
	v_dual_add_f32 v28, v41, v28 :: v_dual_fmamk_f32 v45, v39, 0xbf3f9e67, v59
	v_fma_f32 v41, 0xbf3f9e67, v40, -v60
	v_mul_f32_e32 v80, 0x3f7e222b, v85
	global_inv scope:SCOPE_SE
	v_add_f32_e32 v28, v46, v28
	v_add_f32_e32 v2, v45, v2
	;; [unrolled: 1-line block ×3, first 2 shown]
	v_fma_f32 v45, 0x3df6dbef, v40, -v80
	v_dual_add_f32 v41, v18, v16 :: v_dual_mul_f32 v64, 0xbe750f2a, v87
	s_delay_alu instid0(VALU_DEP_2) | instskip(NEXT) | instid1(VALU_DEP_2)
	v_add_f32_e32 v29, v45, v29
	v_fmamk_f32 v56, v41, 0x3f62ad3f, v78
	s_delay_alu instid0(VALU_DEP_3) | instskip(NEXT) | instid1(VALU_DEP_1)
	v_fma_f32 v46, 0xbf788fa5, v42, -v64
	v_dual_fmamk_f32 v45, v41, 0xbf788fa5, v62 :: v_dual_add_f32 v46, v46, v3
	s_delay_alu instid0(VALU_DEP_4) | instskip(NEXT) | instid1(VALU_DEP_2)
	v_add_f32_e32 v3, v68, v29
	v_dual_add_f32 v45, v45, v2 :: v_dual_add_f32 v2, v56, v28
	v_mul_lo_u16 v56, v54, 13
	s_and_saveexec_b32 s0, vcc_lo
	s_cbranch_execz .LBB0_7
; %bb.6:
	v_dual_mul_f32 v88, 0xbe750f2a, v75 :: v_dual_mul_f32 v93, 0xbe750f2a, v66
	v_dual_mul_f32 v89, 0x3eedf032, v74 :: v_dual_mul_f32 v94, 0x3eedf032, v73
	v_dual_mul_f32 v112, 0xbf6f5d39, v75 :: v_dual_add_f32 v7, v7, v5
	s_delay_alu instid0(VALU_DEP_3) | instskip(SKIP_1) | instid1(VALU_DEP_4)
	v_fmamk_f32 v28, v33, 0xbf788fa5, v88
	v_mul_f32_e32 v91, 0x3f52af12, v83
	v_fmamk_f32 v29, v34, 0x3f62ad3f, v89
	v_fma_f32 v70, 0xbf788fa5, v31, -v93
	v_mul_f32_e32 v92, 0xbf6f5d39, v85
	v_add_f32_e32 v28, v28, v5
	v_mul_f32_e32 v95, 0xbf29c268, v77
	v_dual_mul_f32 v104, 0xbf52af12, v81 :: v_dual_add_f32 v7, v25, v7
	v_add_f32_e32 v98, v70, v4
	s_delay_alu instid0(VALU_DEP_4) | instskip(SKIP_4) | instid1(VALU_DEP_4)
	v_add_f32_e32 v28, v29, v28
	v_fma_f32 v29, 0x3f62ad3f, v32, -v94
	v_mul_f32_e32 v90, 0xbf29c268, v81
	v_mul_f32_e32 v106, 0x3f7e222b, v73
	v_dual_add_f32 v6, v6, v4 :: v_dual_fmamk_f32 v113, v33, 0xbeb58ec6, v112
	v_dual_add_f32 v29, v29, v98 :: v_dual_mul_f32 v98, 0xbf29c268, v75
	v_fmamk_f32 v100, v40, 0xbeb58ec6, v92
	v_fmamk_f32 v99, v38, 0x3f116cb1, v91
	;; [unrolled: 1-line block ×3, first 2 shown]
	v_add_f32_e32 v6, v24, v6
	v_dual_mul_f32 v115, 0xbf6f5d39, v86 :: v_dual_add_f32 v24, v113, v5
	v_add_f32_e32 v113, v27, v7
	v_fma_f32 v108, 0x3df6dbef, v32, -v106
	v_mul_f32_e32 v70, 0xbf6f5d39, v84
	v_add_f32_e32 v28, v97, v28
	v_fma_f32 v97, 0xbf3f9e67, v35, -v95
	v_mul_f32_e32 v68, 0x3f7e222b, v87
	v_dual_mul_f32 v114, 0x3f29c268, v74 :: v_dual_mul_f32 v119, 0x3f29c268, v73
	v_fma_f32 v102, 0xbeb58ec6, v39, -v70
	v_fmamk_f32 v101, v33, 0xbf3f9e67, v98
	v_mul_f32_e32 v96, 0x3f52af12, v82
	v_dual_add_f32 v28, v99, v28 :: v_dual_add_f32 v29, v97, v29
	v_mul_f32_e32 v97, 0x3f7e222b, v74
	s_delay_alu instid0(VALU_DEP_4) | instskip(NEXT) | instid1(VALU_DEP_4)
	v_add_f32_e32 v101, v101, v5
	v_fma_f32 v99, 0x3f116cb1, v37, -v96
	v_mul_f32_e32 v116, 0xbf6f5d39, v66
	v_add_f32_e32 v28, v100, v28
	v_fmamk_f32 v100, v42, 0x3df6dbef, v68
	v_fmamk_f32 v103, v34, 0x3df6dbef, v97
	v_add_f32_e32 v99, v99, v29
	v_dual_add_f32 v117, v26, v6 :: v_dual_mul_f32 v118, 0x3eedf032, v81
	v_fmamk_f32 v6, v34, 0xbf3f9e67, v114
	v_fma_f32 v25, 0xbeb58ec6, v31, -v116
	s_delay_alu instid0(VALU_DEP_4)
	v_dual_add_f32 v29, v100, v28 :: v_dual_add_f32 v28, v102, v99
	v_dual_add_f32 v100, v103, v101 :: v_dual_fmamk_f32 v101, v36, 0x3f116cb1, v104
	v_dual_mul_f32 v102, 0x3e750f2a, v83 :: v_dual_mul_f32 v111, 0x3e750f2a, v82
	v_dual_add_f32 v6, v6, v24 :: v_dual_mul_f32 v121, 0x3eedf032, v77
	v_add_f32_e32 v25, v25, v4
	v_fma_f32 v26, 0xbf3f9e67, v32, -v119
	v_fmamk_f32 v24, v36, 0x3f62ad3f, v118
	v_dual_mul_f32 v99, 0xbf29c268, v66 :: v_dual_add_f32 v100, v101, v100
	s_delay_alu instid0(VALU_DEP_3) | instskip(NEXT) | instid1(VALU_DEP_3)
	v_dual_mul_f32 v120, 0xbf7e222b, v83 :: v_dual_add_f32 v25, v26, v25
	v_dual_fmamk_f32 v101, v38, 0xbf788fa5, v102 :: v_dual_add_f32 v6, v24, v6
	v_mul_f32_e32 v103, 0x3f7e222b, v86
	s_delay_alu instid0(VALU_DEP_4) | instskip(NEXT) | instid1(VALU_DEP_4)
	v_fma_f32 v105, 0xbf3f9e67, v31, -v99
	v_fmamk_f32 v24, v38, 0x3df6dbef, v120
	s_delay_alu instid0(VALU_DEP_4) | instskip(SKIP_4) | instid1(VALU_DEP_3)
	v_add_f32_e32 v100, v101, v100
	v_fma_f32 v26, 0x3f62ad3f, v35, -v121
	v_fma_f32 v110, 0x3df6dbef, v41, -v103
	v_mul_f32_e32 v107, 0x3eedf032, v85
	v_dual_add_f32 v105, v105, v4 :: v_dual_add_f32 v6, v24, v6
	v_dual_mul_f32 v75, 0xbf7e222b, v75 :: v_dual_add_f32 v28, v110, v28
	s_delay_alu instid0(VALU_DEP_3) | instskip(SKIP_1) | instid1(VALU_DEP_4)
	v_dual_fmamk_f32 v101, v40, 0x3f62ad3f, v107 :: v_dual_add_f32 v24, v26, v25
	v_mul_f32_e32 v109, 0xbf52af12, v77
	v_add_f32_e32 v105, v108, v105
	v_dual_mul_f32 v122, 0x3e750f2a, v85 :: v_dual_mul_f32 v123, 0x3e750f2a, v84
	s_delay_alu instid0(VALU_DEP_4) | instskip(NEXT) | instid1(VALU_DEP_4)
	v_add_f32_e32 v100, v101, v100
	v_fma_f32 v108, 0x3f116cb1, v35, -v109
	v_mul_f32_e32 v73, 0xbe750f2a, v73
	s_delay_alu instid0(VALU_DEP_4)
	v_fmamk_f32 v26, v40, 0xbf788fa5, v122
	v_mul_f32_e32 v77, 0x3f6f5d39, v77
	v_mul_f32_e32 v81, 0x3f6f5d39, v81
	v_add_f32_e32 v105, v108, v105
	v_fma_f32 v108, 0xbf788fa5, v37, -v111
	v_mul_f32_e32 v110, 0x3eedf032, v84
	v_add_f32_e32 v26, v26, v6
	v_mul_f32_e32 v124, 0x3f52af12, v87
	v_fma_f32 v125, 0xbf788fa5, v32, -v73
	v_add_f32_e32 v105, v108, v105
	v_fma_f32 v108, 0x3f62ad3f, v39, -v110
	v_mul_f32_e32 v84, 0xbf52af12, v84
	v_dual_add_f32 v20, v20, v117 :: v_dual_fmac_f32 v119, 0xbf3f9e67, v32
	v_fmac_f32_e32 v73, 0xbf788fa5, v32
	s_delay_alu instid0(VALU_DEP_4) | instskip(SKIP_4) | instid1(VALU_DEP_4)
	v_add_f32_e32 v27, v108, v105
	v_mul_f32_e32 v105, 0xbf7e222b, v82
	v_fma_f32 v108, 0xbeb58ec6, v41, -v115
	v_dual_mul_f32 v82, 0x3eedf032, v82 :: v_dual_mul_f32 v83, 0x3eedf032, v83
	v_mul_f32_e32 v85, 0xbf52af12, v85
	v_fma_f32 v25, 0x3df6dbef, v37, -v105
	s_delay_alu instid0(VALU_DEP_4) | instskip(SKIP_2) | instid1(VALU_DEP_4)
	v_add_f32_e32 v6, v108, v27
	v_mul_f32_e32 v108, 0xbf7e222b, v66
	v_mul_f32_e32 v101, 0xbf6f5d39, v87
	v_dual_fmac_f32 v105, 0x3df6dbef, v37 :: v_dual_add_f32 v24, v25, v24
	v_fma_f32 v25, 0xbf788fa5, v39, -v123
	s_delay_alu instid0(VALU_DEP_4) | instskip(NEXT) | instid1(VALU_DEP_4)
	v_fma_f32 v27, 0x3df6dbef, v31, -v108
	v_fmamk_f32 v7, v42, 0xbeb58ec6, v101
	v_fmac_f32_e32 v123, 0xbf788fa5, v39
	v_add_f32_e32 v21, v21, v113
	v_add_f32_e32 v24, v25, v24
	;; [unrolled: 1-line block ×3, first 2 shown]
	v_dual_add_f32 v7, v7, v100 :: v_dual_fmamk_f32 v100, v42, 0x3f116cb1, v124
	s_delay_alu instid0(VALU_DEP_4) | instskip(SKIP_1) | instid1(VALU_DEP_4)
	v_add_f32_e32 v21, v23, v21
	v_fmac_f32_e32 v93, 0xbf788fa5, v31
	v_add_f32_e32 v27, v125, v27
	v_fma_f32 v125, 0xbeb58ec6, v35, -v77
	v_add_f32_e32 v25, v100, v26
	v_dual_add_f32 v17, v17, v21 :: v_dual_fmac_f32 v94, 0x3f62ad3f, v32
	v_fmac_f32_e32 v77, 0xbeb58ec6, v35
	s_delay_alu instid0(VALU_DEP_4) | instskip(SKIP_1) | instid1(VALU_DEP_4)
	v_add_f32_e32 v27, v125, v27
	v_fma_f32 v125, 0x3f62ad3f, v37, -v82
	v_dual_mul_f32 v74, 0xbe750f2a, v74 :: v_dual_add_f32 v17, v19, v17
	v_fmac_f32_e32 v70, 0xbeb58ec6, v39
	s_delay_alu instid0(VALU_DEP_3) | instskip(SKIP_1) | instid1(VALU_DEP_4)
	v_dual_fmac_f32 v96, 0x3f116cb1, v37 :: v_dual_add_f32 v27, v125, v27
	v_fma_f32 v125, 0x3f116cb1, v39, -v84
	v_dual_mul_f32 v100, 0x3f52af12, v86 :: v_dual_add_f32 v13, v13, v17
	v_fmac_f32_e32 v106, 0x3df6dbef, v32
	v_fmac_f32_e32 v110, 0x3f62ad3f, v39
	s_delay_alu instid0(VALU_DEP_4) | instskip(NEXT) | instid1(VALU_DEP_4)
	v_add_f32_e32 v125, v125, v27
	v_fma_f32 v126, 0x3f116cb1, v41, -v100
	v_mul_f32_e32 v127, 0x3f116cb1, v33
	v_fmac_f32_e32 v99, 0xbf3f9e67, v31
	v_fmac_f32_e32 v116, 0xbeb58ec6, v31
	;; [unrolled: 1-line block ×3, first 2 shown]
	v_add_f32_e32 v24, v126, v24
	v_dual_fmamk_f32 v66, v34, 0xbf788fa5, v74 :: v_dual_add_f32 v27, v61, v127
	v_fmamk_f32 v26, v33, 0x3df6dbef, v75
	v_mul_f32_e32 v127, 0xbeb58ec6, v32
	v_mul_f32_e32 v61, 0xbf29c268, v87
	v_mul_f32_e32 v87, 0xbf788fa5, v36
	v_add_f32_e32 v27, v27, v5
	s_delay_alu instid0(VALU_DEP_4) | instskip(NEXT) | instid1(VALU_DEP_4)
	v_dual_add_f32 v26, v26, v5 :: v_dual_sub_f32 v63, v127, v63
	v_fmamk_f32 v126, v42, 0xbf3f9e67, v61
	v_fmac_f32_e32 v100, 0x3f116cb1, v41
	s_delay_alu instid0(VALU_DEP_3) | instskip(SKIP_1) | instid1(VALU_DEP_1)
	v_add_f32_e32 v26, v66, v26
	v_fmamk_f32 v66, v36, 0xbeb58ec6, v81
	v_add_f32_e32 v26, v66, v26
	v_fmamk_f32 v66, v38, 0x3f62ad3f, v83
	s_delay_alu instid0(VALU_DEP_1) | instskip(SKIP_1) | instid1(VALU_DEP_1)
	v_add_f32_e32 v26, v66, v26
	v_fmamk_f32 v66, v40, 0x3f116cb1, v85
	v_add_f32_e32 v26, v66, v26
	v_mul_f32_e32 v66, 0xbeb58ec6, v34
	s_delay_alu instid0(VALU_DEP_1) | instskip(NEXT) | instid1(VALU_DEP_1)
	v_dual_add_f32 v66, v67, v66 :: v_dual_mul_f32 v67, 0x3f116cb1, v31
	v_sub_f32_e32 v58, v67, v58
	v_add_f32_e32 v67, v71, v87
	v_mul_f32_e32 v71, 0xbf3f9e67, v38
	v_fmac_f32_e32 v82, 0x3f62ad3f, v37
	s_delay_alu instid0(VALU_DEP_4) | instskip(NEXT) | instid1(VALU_DEP_1)
	v_add_f32_e32 v58, v58, v4
	v_dual_add_f32 v58, v63, v58 :: v_dual_mul_f32 v63, 0x3df6dbef, v40
	v_mul_f32_e32 v86, 0xbf29c268, v86
	v_add_f32_e32 v66, v66, v27
	v_dual_add_f32 v27, v126, v26 :: v_dual_fmac_f32 v84, 0x3f116cb1, v39
	s_delay_alu instid0(VALU_DEP_4) | instskip(SKIP_3) | instid1(VALU_DEP_3)
	v_add_f32_e32 v63, v80, v63
	v_mul_f32_e32 v26, 0xbf788fa5, v35
	v_fmac_f32_e32 v115, 0xbeb58ec6, v41
	v_fmac_f32_e32 v103, 0x3df6dbef, v41
	v_sub_f32_e32 v26, v26, v65
	s_delay_alu instid0(VALU_DEP_1) | instskip(NEXT) | instid1(VALU_DEP_1)
	v_dual_mul_f32 v65, 0xbf3f9e67, v37 :: v_dual_add_f32 v58, v26, v58
	v_sub_f32_e32 v65, v65, v69
	s_delay_alu instid0(VALU_DEP_1) | instskip(SKIP_4) | instid1(VALU_DEP_4)
	v_dual_mul_f32 v69, 0x3f62ad3f, v41 :: v_dual_add_f32 v58, v65, v58
	v_mul_f32_e32 v65, 0x3f62ad3f, v42
	v_dual_add_f32 v66, v67, v66 :: v_dual_add_f32 v67, v76, v71
	v_fma_f32 v71, 0xbf3f9e67, v41, -v86
	v_fmac_f32_e32 v86, 0xbf3f9e67, v41
	v_add_f32_e32 v65, v79, v65
	s_delay_alu instid0(VALU_DEP_4) | instskip(NEXT) | instid1(VALU_DEP_4)
	v_dual_fmac_f32 v121, 0x3f62ad3f, v35 :: v_dual_add_f32 v66, v67, v66
	v_dual_mul_f32 v67, 0x3df6dbef, v39 :: v_dual_add_f32 v26, v71, v125
	s_delay_alu instid0(VALU_DEP_2) | instskip(NEXT) | instid1(VALU_DEP_2)
	v_add_f32_e32 v63, v63, v66
	v_sub_f32_e32 v67, v67, v72
	s_delay_alu instid0(VALU_DEP_1) | instskip(SKIP_1) | instid1(VALU_DEP_1)
	v_add_f32_e32 v58, v67, v58
	v_dual_sub_f32 v67, v69, v78 :: v_dual_mul_f32 v66, 0x3f62ad3f, v33
	v_dual_mul_f32 v69, 0x3df6dbef, v36 :: v_dual_add_f32 v48, v48, v66
	v_mul_f32_e32 v66, 0x3f116cb1, v34
	s_delay_alu instid0(VALU_DEP_1) | instskip(SKIP_2) | instid1(VALU_DEP_1)
	v_add_f32_e32 v50, v50, v66
	v_add_f32_e32 v66, v65, v63
	v_mul_f32_e32 v63, 0x3f62ad3f, v31
	v_sub_f32_e32 v43, v63, v43
	v_mul_f32_e32 v63, 0xbeb58ec6, v38
	s_delay_alu instid0(VALU_DEP_2) | instskip(NEXT) | instid1(VALU_DEP_2)
	v_dual_add_f32 v43, v43, v4 :: v_dual_add_f32 v48, v48, v5
	v_add_f32_e32 v57, v57, v63
	v_mul_f32_e32 v63, 0xbf3f9e67, v40
	v_dual_add_f32 v65, v67, v58 :: v_dual_mul_f32 v58, 0x3df6dbef, v35
	s_delay_alu instid0(VALU_DEP_4) | instskip(SKIP_1) | instid1(VALU_DEP_3)
	v_add_f32_e32 v48, v50, v48
	v_add_f32_e32 v50, v52, v69
	v_dual_mul_f32 v52, 0x3f116cb1, v32 :: v_dual_sub_f32 v49, v58, v49
	s_delay_alu instid0(VALU_DEP_1) | instskip(SKIP_1) | instid1(VALU_DEP_2)
	v_sub_f32_e32 v47, v52, v47
	v_mul_f32_e32 v52, 0xbf3f9e67, v39
	v_dual_add_f32 v43, v47, v43 :: v_dual_add_f32 v48, v50, v48
	v_mul_f32_e32 v47, 0xbf788fa5, v41
	s_delay_alu instid0(VALU_DEP_2) | instskip(NEXT) | instid1(VALU_DEP_3)
	v_dual_add_f32 v43, v49, v43 :: v_dual_mul_f32 v50, 0xbeb58ec6, v37
	v_dual_add_f32 v23, v57, v48 :: v_dual_mul_f32 v58, 0xbf788fa5, v42
	v_add_f32_e32 v48, v60, v63
	s_delay_alu instid0(VALU_DEP_3) | instskip(SKIP_1) | instid1(VALU_DEP_3)
	v_sub_f32_e32 v21, v50, v51
	v_add_f32_e32 v20, v22, v20
	v_add_f32_e32 v22, v48, v23
	;; [unrolled: 1-line block ×3, first 2 shown]
	s_delay_alu instid0(VALU_DEP_3) | instskip(NEXT) | instid1(VALU_DEP_2)
	v_dual_add_f32 v19, v16, v20 :: v_dual_add_f32 v20, v21, v43
	v_dual_sub_f32 v21, v52, v59 :: v_dual_add_f32 v16, v23, v22
	s_delay_alu instid0(VALU_DEP_2) | instskip(SKIP_1) | instid1(VALU_DEP_3)
	v_add_f32_e32 v17, v18, v19
	v_fma_f32 v18, 0xbf788fa5, v33, -v88
	v_dual_add_f32 v19, v21, v20 :: v_dual_sub_f32 v20, v47, v62
	s_delay_alu instid0(VALU_DEP_3) | instskip(SKIP_1) | instid1(VALU_DEP_4)
	v_add_f32_e32 v12, v12, v17
	v_add_f32_e32 v13, v15, v13
	;; [unrolled: 1-line block ×3, first 2 shown]
	v_fma_f32 v18, 0x3f62ad3f, v34, -v89
	s_delay_alu instid0(VALU_DEP_3) | instskip(SKIP_1) | instid1(VALU_DEP_2)
	v_dual_add_f32 v12, v14, v12 :: v_dual_add_f32 v9, v9, v13
	v_fma_f32 v14, 0xbf3f9e67, v36, -v90
	v_add_f32_e32 v8, v8, v12
	v_add_f32_e32 v15, v20, v19
	s_delay_alu instid0(VALU_DEP_4)
	v_add_f32_e32 v9, v11, v9
	v_fma_f32 v12, 0x3f116cb1, v38, -v91
	v_fma_f32 v19, 0xbf3f9e67, v42, -v61
	v_add_f32_e32 v8, v10, v8
	v_add_f32_e32 v13, v18, v17
	;; [unrolled: 1-line block ×4, first 2 shown]
	v_fma_f32 v10, 0xbeb58ec6, v40, -v92
	s_delay_alu instid0(VALU_DEP_4) | instskip(NEXT) | instid1(VALU_DEP_4)
	v_dual_add_f32 v0, v0, v8 :: v_dual_add_f32 v11, v14, v13
	v_add_f32_e32 v13, v94, v17
	v_fma_f32 v8, 0xbf3f9e67, v33, -v98
	v_fmac_f32_e32 v95, 0xbf3f9e67, v35
	v_fma_f32 v14, 0xbf3f9e67, v34, -v114
	v_add_f32_e32 v9, v12, v11
	v_fma_f32 v12, 0x3df6dbef, v34, -v97
	v_add_f32_e32 v8, v8, v5
	v_add_f32_e32 v11, v95, v13
	;; [unrolled: 1-line block ×4, first 2 shown]
	v_fma_f32 v10, 0x3df6dbef, v42, -v68
	v_add_f32_e32 v17, v116, v4
	v_add_f32_e32 v11, v96, v11
	v_dual_add_f32 v13, v106, v13 :: v_dual_add_f32 v4, v108, v4
	s_delay_alu instid0(VALU_DEP_4) | instskip(SKIP_1) | instid1(VALU_DEP_4)
	v_add_f32_e32 v9, v10, v9
	v_fmac_f32_e32 v109, 0x3f116cb1, v35
	v_dual_add_f32 v10, v70, v11 :: v_dual_add_f32 v11, v12, v8
	v_fma_f32 v12, 0x3f116cb1, v36, -v104
	v_add_f32_e32 v4, v73, v4
	s_delay_alu instid0(VALU_DEP_3) | instskip(SKIP_1) | instid1(VALU_DEP_4)
	v_dual_add_f32 v13, v109, v13 :: v_dual_add_f32 v8, v103, v10
	v_fma_f32 v10, 0xbeb58ec6, v33, -v112
	v_add_f32_e32 v11, v12, v11
	v_fma_f32 v12, 0xbf788fa5, v38, -v102
	v_dual_fmac_f32 v111, 0xbf788fa5, v37 :: v_dual_add_f32 v4, v77, v4
	s_delay_alu instid0(VALU_DEP_4) | instskip(NEXT) | instid1(VALU_DEP_3)
	v_add_f32_e32 v10, v10, v5
	v_dual_add_f32 v11, v12, v11 :: v_dual_and_b32 v18, 0xffff, v56
	v_fma_f32 v12, 0x3f62ad3f, v40, -v107
	s_delay_alu instid0(VALU_DEP_4) | instskip(NEXT) | instid1(VALU_DEP_4)
	v_dual_add_f32 v13, v111, v13 :: v_dual_add_f32 v4, v82, v4
	v_add_f32_e32 v10, v14, v10
	v_fma_f32 v14, 0x3f62ad3f, v36, -v118
	s_delay_alu instid0(VALU_DEP_4)
	v_add_f32_e32 v11, v12, v11
	v_fma_f32 v12, 0xbeb58ec6, v42, -v101
	v_add_f32_e32 v20, v84, v4
	v_add_lshl_u32 v18, v30, v18, 3
	v_add_f32_e32 v10, v14, v10
	v_fma_f32 v14, 0x3df6dbef, v38, -v120
	v_dual_add_f32 v11, v12, v11 :: v_dual_add_f32 v12, v110, v13
	s_delay_alu instid0(VALU_DEP_2) | instskip(SKIP_1) | instid1(VALU_DEP_3)
	v_add_f32_e32 v13, v14, v10
	v_fma_f32 v14, 0xbf788fa5, v40, -v122
	v_add_f32_e32 v10, v115, v12
	v_fma_f32 v12, 0x3df6dbef, v33, -v75
	s_delay_alu instid0(VALU_DEP_3) | instskip(NEXT) | instid1(VALU_DEP_2)
	v_add_f32_e32 v13, v14, v13
	v_add_f32_e32 v5, v12, v5
	v_fma_f32 v12, 0xbf788fa5, v34, -v74
	s_delay_alu instid0(VALU_DEP_1) | instskip(SKIP_1) | instid1(VALU_DEP_1)
	v_add_f32_e32 v5, v12, v5
	v_fma_f32 v12, 0xbeb58ec6, v36, -v81
	v_add_f32_e32 v5, v12, v5
	v_fma_f32 v12, 0x3f62ad3f, v38, -v83
	s_delay_alu instid0(VALU_DEP_1) | instskip(SKIP_1) | instid1(VALU_DEP_1)
	v_add_f32_e32 v5, v12, v5
	v_fma_f32 v12, 0x3f116cb1, v40, -v85
	v_add_f32_e32 v12, v12, v5
	v_add_f32_e32 v14, v119, v17
	v_fma_f32 v17, 0x3f116cb1, v42, -v124
	s_delay_alu instid0(VALU_DEP_2) | instskip(NEXT) | instid1(VALU_DEP_1)
	v_add_f32_e32 v14, v121, v14
	v_add_f32_e32 v14, v105, v14
	s_delay_alu instid0(VALU_DEP_1) | instskip(NEXT) | instid1(VALU_DEP_1)
	v_add_f32_e32 v14, v123, v14
	v_dual_add_f32 v4, v100, v14 :: v_dual_add_f32 v5, v17, v13
	v_add_f32_e32 v13, v19, v12
	v_add_f32_e32 v12, v86, v20
	ds_store_2addr_b64 v18, v[0:1], v[15:16] offset1:1
	ds_store_2addr_b64 v18, v[65:66], v[26:27] offset0:2 offset1:3
	ds_store_2addr_b64 v18, v[24:25], v[6:7] offset0:4 offset1:5
	;; [unrolled: 1-line block ×5, first 2 shown]
	ds_store_b64 v18, v[45:46] offset:96
.LBB0_7:
	s_wait_alu 0xfffe
	s_or_b32 exec_lo, exec_lo, s0
	v_mul_u32_u24_e32 v0, 10, v54
	s_load_b128 s[0:3], s[2:3], 0x0
	global_wb scope:SCOPE_SE
	s_wait_dscnt 0x0
	s_wait_kmcnt 0x0
	s_barrier_signal -1
	s_barrier_wait -1
	v_lshlrev_b32_e32 v0, 3, v0
	global_inv scope:SCOPE_SE
	v_add_lshl_u32 v58, v30, v54, 3
	v_lshl_add_u32 v57, v54, 3, v55
	s_clause 0x4
	global_load_b128 v[20:23], v0, s[4:5]
	global_load_b128 v[12:15], v0, s[4:5] offset:16
	global_load_b128 v[8:11], v0, s[4:5] offset:32
	;; [unrolled: 1-line block ×4, first 2 shown]
	ds_load_2addr_b64 v[24:27], v58 offset1:13
	ds_load_2addr_b64 v[40:43], v58 offset0:26 offset1:39
	ds_load_2addr_b64 v[36:39], v58 offset0:52 offset1:65
	;; [unrolled: 1-line block ×4, first 2 shown]
	ds_load_b64 v[0:1], v58 offset:1040
	s_wait_loadcnt_dscnt 0x405
	v_mul_f32_e32 v47, v27, v21
	s_wait_dscnt 0x4
	v_dual_mul_f32 v48, v26, v21 :: v_dual_mul_f32 v49, v41, v23
	s_wait_loadcnt 0x3
	v_dual_mul_f32 v50, v40, v23 :: v_dual_mul_f32 v51, v43, v13
	s_wait_loadcnt_dscnt 0x0
	v_dual_mul_f32 v70, v30, v17 :: v_dual_mul_f32 v71, v1, v19
	v_dual_mul_f32 v52, v42, v13 :: v_dual_mul_f32 v59, v37, v15
	;; [unrolled: 1-line block ×5, first 2 shown]
	v_fma_f32 v26, v26, v20, -v47
	v_fmac_f32_e32 v48, v27, v20
	v_fma_f32 v27, v40, v22, -v49
	v_fma_f32 v49, v0, v18, -v71
	v_dual_mul_f32 v60, v36, v15 :: v_dual_mul_f32 v61, v39, v9
	v_dual_mul_f32 v62, v38, v9 :: v_dual_mul_f32 v63, v33, v11
	v_fma_f32 v40, v42, v12, -v51
	v_fma_f32 v36, v36, v14, -v59
	;; [unrolled: 1-line block ×3, first 2 shown]
	v_fmac_f32_e32 v64, v33, v10
	v_fma_f32 v33, v34, v4, -v65
	v_dual_fmac_f32 v68, v29, v6 :: v_dual_add_f32 v29, v26, v49
	v_mul_f32_e32 v72, v0, v19
	v_fmac_f32_e32 v60, v37, v14
	s_delay_alu instid0(VALU_DEP_4) | instskip(SKIP_1) | instid1(VALU_DEP_4)
	v_dual_fmac_f32 v66, v35, v4 :: v_dual_add_f32 v51, v36, v33
	v_fma_f32 v37, v38, v8, -v61
	v_fmac_f32_e32 v72, v1, v18
	v_fmac_f32_e32 v50, v41, v22
	v_fma_f32 v32, v32, v10, -v63
	v_fma_f32 v47, v30, v16, -v69
	v_dual_add_f32 v0, v24, v26 :: v_dual_add_f32 v1, v25, v48
	v_add_f32_e32 v41, v40, v28
	s_delay_alu instid0(VALU_DEP_4) | instskip(SKIP_3) | instid1(VALU_DEP_3)
	v_add_f32_e32 v65, v37, v32
	v_dual_fmac_f32 v70, v31, v16 :: v_dual_add_f32 v59, v60, v66
	v_dual_sub_f32 v26, v26, v49 :: v_dual_sub_f32 v63, v60, v66
	v_sub_f32_e32 v31, v48, v72
	v_dual_fmac_f32 v52, v43, v12 :: v_dual_add_f32 v35, v50, v70
	v_dual_fmac_f32 v62, v39, v8 :: v_dual_sub_f32 v39, v50, v70
	v_dual_add_f32 v34, v27, v47 :: v_dual_sub_f32 v69, v37, v32
	v_dual_sub_f32 v43, v40, v28 :: v_dual_sub_f32 v38, v27, v47
	s_delay_alu instid0(VALU_DEP_3)
	v_add_f32_e32 v71, v62, v64
	v_sub_f32_e32 v61, v36, v33
	v_sub_f32_e32 v67, v62, v64
	v_dual_add_f32 v30, v48, v72 :: v_dual_add_f32 v1, v1, v50
	v_dual_sub_f32 v48, v52, v68 :: v_dual_mul_f32 v73, 0xbf68dda4, v31
	v_add_f32_e32 v0, v0, v27
	v_dual_mul_f32 v74, 0xbf68dda4, v26 :: v_dual_mul_f32 v79, 0xbf68dda4, v39
	v_dual_add_f32 v42, v52, v68 :: v_dual_mul_f32 v27, 0xbf0a6770, v31
	s_delay_alu instid0(VALU_DEP_4)
	v_dual_mul_f32 v50, 0xbf0a6770, v26 :: v_dual_mul_f32 v93, 0xbf0a6770, v48
	v_dual_mul_f32 v75, 0xbf7d64f0, v31 :: v_dual_mul_f32 v76, 0xbf7d64f0, v26
	;; [unrolled: 1-line block ×4, first 2 shown]
	v_dual_mul_f32 v80, 0xbf68dda4, v38 :: v_dual_add_f32 v1, v1, v52
	v_mul_f32_e32 v87, 0xbf7d64f0, v48
	v_dual_mul_f32 v103, 0xbe903f40, v67 :: v_dual_add_f32 v0, v0, v40
	v_fmamk_f32 v112, v30, 0x3ed4b147, v74
	v_fma_f32 v74, 0x3ed4b147, v30, -v74
	v_mul_f32_e32 v109, 0xbf4178ce, v69
	v_dual_mul_f32 v81, 0xbf4178ce, v39 :: v_dual_mul_f32 v82, 0xbf4178ce, v38
	v_dual_mul_f32 v83, 0x3e903f40, v39 :: v_dual_mul_f32 v84, 0x3e903f40, v38
	;; [unrolled: 1-line block ×4, first 2 shown]
	v_mul_f32_e32 v88, 0xbf7d64f0, v43
	v_dual_mul_f32 v89, 0x3e903f40, v48 :: v_dual_mul_f32 v90, 0x3e903f40, v43
	v_dual_mul_f32 v91, 0x3f68dda4, v48 :: v_dual_mul_f32 v92, 0x3f68dda4, v43
	;; [unrolled: 1-line block ×3, first 2 shown]
	v_mul_f32_e32 v96, 0xbf4178ce, v61
	v_dual_mul_f32 v97, 0x3f7d64f0, v63 :: v_dual_mul_f32 v98, 0x3f7d64f0, v61
	v_dual_mul_f32 v99, 0xbf0a6770, v63 :: v_dual_mul_f32 v100, 0xbf0a6770, v61
	;; [unrolled: 1-line block ×5, first 2 shown]
	v_fma_f32 v40, 0x3f575c64, v29, -v27
	v_mul_f32_e32 v105, 0xbf4178ce, v67
	v_dual_fmamk_f32 v52, v30, 0x3f575c64, v50 :: v_dual_fmac_f32 v27, 0x3f575c64, v29
	v_mul_f32_e32 v108, 0x3f0a6770, v69
	v_fma_f32 v50, 0x3f575c64, v30, -v50
	v_mul_f32_e32 v107, 0xbe903f40, v69
	v_mul_f32_e32 v69, 0xbf7d64f0, v69
	v_fma_f32 v111, 0x3ed4b147, v29, -v73
	s_delay_alu instid0(VALU_DEP_4) | instskip(SKIP_2) | instid1(VALU_DEP_3)
	v_dual_fmac_f32 v73, 0x3ed4b147, v29 :: v_dual_add_f32 v50, v25, v50
	v_mul_f32_e32 v94, 0xbf0a6770, v43
	v_mul_f32_e32 v43, 0xbf4178ce, v43
	v_dual_mul_f32 v104, 0x3f0a6770, v67 :: v_dual_add_f32 v73, v24, v73
	v_dual_mul_f32 v67, 0xbf7d64f0, v67 :: v_dual_add_f32 v52, v25, v52
	v_fma_f32 v113, 0xbe11bafb, v29, -v75
	v_dual_fmamk_f32 v114, v30, 0xbe11bafb, v76 :: v_dual_fmac_f32 v75, 0xbe11bafb, v29
	v_fma_f32 v76, 0xbe11bafb, v30, -v76
	v_fma_f32 v115, 0xbf27a4f4, v29, -v77
	v_dual_fmamk_f32 v116, v30, 0xbf27a4f4, v78 :: v_dual_fmac_f32 v77, 0xbf27a4f4, v29
	v_fma_f32 v78, 0xbf27a4f4, v30, -v78
	;; [unrolled: 3-line block ×3, first 2 shown]
	v_dual_add_f32 v74, v25, v74 :: v_dual_fmamk_f32 v147, v71, 0xbf27a4f4, v109
	v_add_f32_e32 v0, v0, v36
	v_add_f32_e32 v1, v1, v60
	v_fma_f32 v29, 0x3ed4b147, v34, -v79
	v_dual_fmamk_f32 v30, v35, 0x3ed4b147, v80 :: v_dual_fmac_f32 v79, 0x3ed4b147, v34
	v_fma_f32 v80, 0x3ed4b147, v35, -v80
	v_fma_f32 v119, 0xbf27a4f4, v34, -v81
	v_dual_fmamk_f32 v120, v35, 0xbf27a4f4, v82 :: v_dual_fmac_f32 v81, 0xbf27a4f4, v34
	v_fma_f32 v82, 0xbf27a4f4, v35, -v82
	;; [unrolled: 3-line block ×9, first 2 shown]
	v_fma_f32 v133, 0xbf27a4f4, v41, -v48
	v_fmamk_f32 v134, v42, 0xbf27a4f4, v43
	v_fmac_f32_e32 v48, 0xbf27a4f4, v41
	v_fma_f32 v41, 0xbf27a4f4, v42, -v43
	v_fma_f32 v42, 0xbf27a4f4, v51, -v95
	v_fmac_f32_e32 v95, 0xbf27a4f4, v51
	v_fmamk_f32 v43, v59, 0xbf27a4f4, v96
	v_fma_f32 v96, 0xbf27a4f4, v59, -v96
	v_fma_f32 v135, 0xbe11bafb, v51, -v97
	v_dual_fmamk_f32 v136, v59, 0xbe11bafb, v98 :: v_dual_fmac_f32 v97, 0xbe11bafb, v51
	v_fma_f32 v98, 0xbe11bafb, v59, -v98
	v_fma_f32 v137, 0x3f575c64, v51, -v99
	v_dual_fmamk_f32 v138, v59, 0x3f575c64, v100 :: v_dual_fmac_f32 v99, 0x3f575c64, v51
	;; [unrolled: 3-line block ×3, first 2 shown]
	v_fma_f32 v102, 0xbf75a155, v59, -v102
	v_fma_f32 v141, 0x3ed4b147, v51, -v63
	v_fmac_f32_e32 v63, 0x3ed4b147, v51
	v_fmamk_f32 v51, v59, 0x3ed4b147, v61
	v_fma_f32 v59, 0x3ed4b147, v59, -v61
	v_fma_f32 v61, 0xbf75a155, v65, -v103
	v_dual_fmac_f32 v103, 0xbf75a155, v65 :: v_dual_add_f32 v76, v25, v76
	v_fma_f32 v142, 0x3f575c64, v65, -v104
	v_fmac_f32_e32 v104, 0x3f575c64, v65
	v_fma_f32 v144, 0x3ed4b147, v65, -v106
	v_fmac_f32_e32 v106, 0x3ed4b147, v65
	v_fma_f32 v145, 0xbe11bafb, v65, -v67
	v_dual_fmac_f32 v67, 0xbe11bafb, v65 :: v_dual_add_f32 v78, v25, v78
	v_fma_f32 v109, 0xbf27a4f4, v71, -v109
	v_dual_fmamk_f32 v148, v71, 0x3ed4b147, v110 :: v_dual_add_f32 v75, v24, v75
	v_fma_f32 v110, 0x3ed4b147, v71, -v110
	v_dual_fmamk_f32 v149, v71, 0xbe11bafb, v69 :: v_dual_add_f32 v36, v25, v118
	v_fma_f32 v69, 0xbe11bafb, v71, -v69
	v_add_f32_e32 v40, v24, v40
	v_fma_f32 v143, 0xbf27a4f4, v65, -v105
	v_fmac_f32_e32 v105, 0xbf27a4f4, v65
	v_fmamk_f32 v65, v71, 0xbf75a155, v107
	v_fma_f32 v107, 0xbf75a155, v71, -v107
	v_dual_add_f32 v27, v24, v27 :: v_dual_fmamk_f32 v146, v71, 0x3f575c64, v108
	v_fma_f32 v108, 0x3f575c64, v71, -v108
	v_add_f32_e32 v71, v24, v111
	v_dual_add_f32 v111, v25, v112 :: v_dual_add_f32 v112, v24, v113
	v_dual_add_f32 v113, v25, v114 :: v_dual_add_f32 v114, v24, v115
	v_add_f32_e32 v115, v25, v116
	v_add_f32_e32 v77, v24, v77
	;; [unrolled: 1-line block ×3, first 2 shown]
	v_dual_add_f32 v24, v24, v31 :: v_dual_add_f32 v25, v25, v26
	v_add_f32_e32 v60, v122, v113
	v_dual_add_f32 v0, v0, v37 :: v_dual_add_f32 v1, v1, v62
	v_add_f32_e32 v62, v83, v75
	v_add_f32_e32 v26, v29, v40
	v_dual_add_f32 v29, v30, v52 :: v_dual_add_f32 v30, v80, v50
	v_dual_add_f32 v27, v79, v27 :: v_dual_add_f32 v40, v81, v73
	;; [unrolled: 1-line block ×26, first 2 shown]
	v_add_f32_e32 v42, v139, v50
	v_add_f32_e32 v48, v101, v60
	v_dual_add_f32 v50, v102, v62 :: v_dual_add_f32 v59, v1, v68
	v_add_f32_e32 v36, v51, v36
	v_dual_add_f32 v51, v0, v28 :: v_dual_add_f32 v34, v97, v34
	;; [unrolled: 2-line block ×3, first 2 shown]
	v_add_f32_e32 v52, v141, v64
	v_add_f32_e32 v24, v63, v24
	v_dual_add_f32 v26, v61, v26 :: v_dual_add_f32 v47, v51, v47
	v_dual_add_f32 v1, v107, v30 :: v_dual_add_f32 v32, v142, v31
	v_add_f32_e32 v31, v108, v35
	v_dual_add_f32 v35, v147, v38 :: v_dual_add_f32 v38, v106, v48
	v_add_f32_e32 v48, v59, v70
	v_dual_add_f32 v0, v103, v33 :: v_dual_add_f32 v29, v109, v40
	v_dual_add_f32 v33, v146, v41 :: v_dual_add_f32 v30, v104, v34
	v_add_f32_e32 v34, v143, v37
	v_add_f32_e32 v28, v105, v39
	v_dual_add_f32 v40, v144, v42 :: v_dual_add_f32 v37, v69, v25
	v_add_f32_e32 v41, v148, v43
	v_dual_add_f32 v39, v110, v50 :: v_dual_add_f32 v42, v145, v52
	v_add_f32_e32 v43, v149, v36
	v_add_f32_e32 v36, v67, v24
	v_dual_add_f32 v24, v47, v49 :: v_dual_add_f32 v25, v48, v72
	ds_store_2addr_b64 v57, v[32:33], v[34:35] offset0:26 offset1:39
	ds_store_2addr_b64 v57, v[40:41], v[42:43] offset0:52 offset1:65
	;; [unrolled: 1-line block ×4, first 2 shown]
	ds_store_b64 v57, v[0:1] offset:1040
	ds_store_2addr_b64 v57, v[24:25], v[26:27] offset1:13
	global_wb scope:SCOPE_SE
	s_wait_dscnt 0x0
	s_barrier_signal -1
	s_barrier_wait -1
	global_inv scope:SCOPE_SE
	s_and_saveexec_b32 s6, vcc_lo
	s_cbranch_execz .LBB0_9
; %bb.8:
	s_add_nc_u64 s[4:5], s[8:9], 0x478
	s_clause 0xc
	global_load_b64 v[51:52], v53, s[8:9] offset:1144
	global_load_b64 v[79:80], v53, s[4:5] offset:88
	;; [unrolled: 1-line block ×13, first 2 shown]
	ds_load_2addr_b64 v[47:50], v57 offset1:11
	ds_load_2addr_b64 v[59:62], v57 offset0:22 offset1:33
	ds_load_2addr_b64 v[63:66], v57 offset0:44 offset1:55
	;; [unrolled: 1-line block ×5, first 2 shown]
	ds_load_b64 v[103:104], v57 offset:1056
	s_wait_loadcnt_dscnt 0xc06
	v_mul_f32_e32 v105, v48, v52
	v_mul_f32_e32 v106, v47, v52
	s_wait_loadcnt_dscnt 0xa05
	v_dual_mul_f32 v107, v50, v80 :: v_dual_mul_f32 v108, v60, v82
	v_mul_f32_e32 v52, v49, v80
	s_wait_loadcnt 0x9
	v_dual_mul_f32 v80, v59, v82 :: v_dual_mul_f32 v109, v62, v84
	s_wait_loadcnt_dscnt 0x804
	v_mul_f32_e32 v110, v64, v86
	v_mul_f32_e32 v82, v61, v84
	s_wait_loadcnt 0x7
	v_dual_mul_f32 v84, v63, v86 :: v_dual_mul_f32 v111, v66, v88
	v_mul_f32_e32 v86, v65, v88
	s_wait_loadcnt_dscnt 0x503
	v_dual_mul_f32 v112, v68, v90 :: v_dual_mul_f32 v113, v70, v92
	s_wait_loadcnt_dscnt 0x302
	v_dual_mul_f32 v88, v67, v90 :: v_dual_mul_f32 v115, v74, v96
	v_mul_f32_e32 v90, v69, v92
	s_wait_loadcnt_dscnt 0x101
	v_dual_mul_f32 v114, v72, v94 :: v_dual_mul_f32 v117, v78, v100
	v_mul_f32_e32 v92, v71, v94
	v_mul_f32_e32 v94, v73, v96
	;; [unrolled: 1-line block ×5, first 2 shown]
	s_wait_loadcnt_dscnt 0x0
	v_mul_f32_e32 v118, v104, v102
	v_mul_f32_e32 v100, v103, v102
	v_fma_f32 v105, v47, v51, -v105
	v_fmac_f32_e32 v106, v48, v51
	v_fma_f32 v51, v49, v79, -v107
	v_fmac_f32_e32 v52, v50, v79
	;; [unrolled: 2-line block ×13, first 2 shown]
	ds_store_2addr_b64 v57, v[105:106], v[51:52] offset1:11
	ds_store_2addr_b64 v57, v[79:80], v[81:82] offset0:22 offset1:33
	ds_store_2addr_b64 v57, v[83:84], v[85:86] offset0:44 offset1:55
	;; [unrolled: 1-line block ×5, first 2 shown]
	ds_store_b64 v57, v[99:100] offset:1056
.LBB0_9:
	s_wait_alu 0xfffe
	s_or_b32 exec_lo, exec_lo, s6
	global_wb scope:SCOPE_SE
	s_wait_dscnt 0x0
	s_barrier_signal -1
	s_barrier_wait -1
	global_inv scope:SCOPE_SE
	s_and_saveexec_b32 s4, vcc_lo
	s_cbranch_execz .LBB0_11
; %bb.10:
	ds_load_2addr_b64 v[24:27], v57 offset1:11
	ds_load_2addr_b64 v[32:35], v57 offset0:22 offset1:33
	ds_load_2addr_b64 v[40:43], v57 offset0:44 offset1:55
	;; [unrolled: 1-line block ×5, first 2 shown]
	ds_load_b64 v[45:46], v57 offset:1056
.LBB0_11:
	s_wait_alu 0xfffe
	s_or_b32 exec_lo, exec_lo, s4
	global_wb scope:SCOPE_SE
	s_wait_dscnt 0x0
	s_barrier_signal -1
	s_barrier_wait -1
	global_inv scope:SCOPE_SE
	s_and_saveexec_b32 s4, vcc_lo
	s_cbranch_execz .LBB0_13
; %bb.12:
	v_dual_add_f32 v73, v46, v27 :: v_dual_sub_f32 v60, v32, v2
	v_dual_sub_f32 v63, v26, v45 :: v_dual_add_f32 v76, v1, v35
	v_dual_add_f32 v75, v3, v33 :: v_dual_add_f32 v80, v29, v43
	s_delay_alu instid0(VALU_DEP_3) | instskip(NEXT) | instid1(VALU_DEP_3)
	v_dual_mul_f32 v77, 0xbf788fa5, v73 :: v_dual_sub_f32 v62, v42, v28
	v_dual_mul_f32 v81, 0xbf3f9e67, v76 :: v_dual_sub_f32 v82, v27, v46
	s_delay_alu instid0(VALU_DEP_3) | instskip(NEXT) | instid1(VALU_DEP_3)
	v_dual_mul_f32 v79, 0x3f62ad3f, v75 :: v_dual_add_f32 v64, v45, v26
	v_dual_fmamk_f32 v47, v63, 0x3e750f2a, v77 :: v_dual_add_f32 v66, v2, v32
	v_dual_sub_f32 v61, v34, v0 :: v_dual_add_f32 v78, v31, v41
	s_delay_alu instid0(VALU_DEP_2) | instskip(SKIP_2) | instid1(VALU_DEP_4)
	v_dual_fmamk_f32 v48, v60, 0xbeedf032, v79 :: v_dual_add_f32 v47, v25, v47
	v_dual_sub_f32 v59, v40, v30 :: v_dual_sub_f32 v84, v33, v3
	v_mul_f32_e32 v86, 0xbe750f2a, v82
	v_dual_mul_f32 v83, 0x3f116cb1, v78 :: v_dual_add_f32 v88, v39, v37
	s_delay_alu instid0(VALU_DEP_4) | instskip(SKIP_1) | instid1(VALU_DEP_4)
	v_add_f32_e32 v47, v48, v47
	v_dual_mul_f32 v85, 0xbeb58ec6, v80 :: v_dual_sub_f32 v92, v41, v31
	v_dual_fmamk_f32 v50, v64, 0xbf788fa5, v86 :: v_dual_sub_f32 v89, v35, v1
	v_fmamk_f32 v49, v61, 0x3f29c268, v81
	v_dual_add_f32 v67, v0, v34 :: v_dual_add_f32 v68, v30, v40
	s_delay_alu instid0(VALU_DEP_3) | instskip(NEXT) | instid1(VALU_DEP_3)
	v_add_f32_e32 v50, v24, v50
	v_dual_fmamk_f32 v48, v59, 0xbf52af12, v83 :: v_dual_add_f32 v47, v49, v47
	v_mul_f32_e32 v87, 0x3eedf032, v84
	v_dual_fmamk_f32 v49, v62, 0x3f6f5d39, v85 :: v_dual_sub_f32 v94, v43, v29
	v_dual_sub_f32 v65, v36, v38 :: v_dual_mul_f32 v98, 0x3df6dbef, v75
	s_delay_alu instid0(VALU_DEP_3) | instskip(SKIP_2) | instid1(VALU_DEP_3)
	v_dual_add_f32 v47, v48, v47 :: v_dual_fmamk_f32 v48, v66, 0x3f62ad3f, v87
	v_mul_f32_e32 v90, 0xbf29c268, v89
	v_mul_f32_e32 v93, 0x3f52af12, v92
	v_dual_mul_f32 v100, 0x3f116cb1, v76 :: v_dual_add_f32 v47, v49, v47
	s_delay_alu instid0(VALU_DEP_4) | instskip(NEXT) | instid1(VALU_DEP_4)
	v_dual_mul_f32 v91, 0x3df6dbef, v88 :: v_dual_add_f32 v48, v48, v50
	v_dual_fmamk_f32 v49, v67, 0xbf3f9e67, v90 :: v_dual_add_f32 v70, v28, v42
	s_delay_alu instid0(VALU_DEP_4) | instskip(SKIP_1) | instid1(VALU_DEP_3)
	v_fmamk_f32 v51, v68, 0x3f116cb1, v93
	v_dual_mul_f32 v96, 0xbf6f5d39, v94 :: v_dual_sub_f32 v97, v37, v39
	v_add_f32_e32 v49, v49, v48
	v_dual_fmamk_f32 v50, v65, 0xbf7e222b, v91 :: v_dual_add_f32 v69, v38, v36
	v_mul_f32_e32 v102, 0xbf788fa5, v78
	v_mul_f32_e32 v101, 0xbf29c268, v82
	s_delay_alu instid0(VALU_DEP_3)
	v_dual_mul_f32 v95, 0xbf3f9e67, v73 :: v_dual_add_f32 v48, v50, v47
	v_dual_add_f32 v47, v51, v49 :: v_dual_fmamk_f32 v50, v70, 0xbeb58ec6, v96
	v_mul_f32_e32 v99, 0x3f7e222b, v97
	v_mul_f32_e32 v103, 0x3f7e222b, v84
	;; [unrolled: 1-line block ×3, first 2 shown]
	v_fmamk_f32 v51, v60, 0xbf7e222b, v98
	s_delay_alu instid0(VALU_DEP_4) | instskip(NEXT) | instid1(VALU_DEP_4)
	v_dual_add_f32 v47, v50, v47 :: v_dual_fmamk_f32 v50, v69, 0x3df6dbef, v99
	v_fmamk_f32 v52, v66, 0x3df6dbef, v103
	v_mul_f32_e32 v112, 0x3f62ad3f, v76
	v_dual_mul_f32 v127, 0xbe750f2a, v84 :: v_dual_mul_f32 v144, 0xbe750f2a, v89
	s_delay_alu instid0(VALU_DEP_4) | instskip(NEXT) | instid1(VALU_DEP_3)
	v_dual_add_f32 v47, v50, v47 :: v_dual_fmamk_f32 v50, v64, 0xbf3f9e67, v101
	v_fmamk_f32 v72, v61, 0xbeedf032, v112
	s_delay_alu instid0(VALU_DEP_3) | instskip(SKIP_1) | instid1(VALU_DEP_4)
	v_dual_mul_f32 v122, 0xbf788fa5, v75 :: v_dual_fmamk_f32 v129, v66, 0xbf788fa5, v127
	v_mul_f32_e32 v104, 0x3f62ad3f, v80
	v_dual_add_f32 v50, v24, v50 :: v_dual_fmamk_f32 v49, v63, 0x3f29c268, v95
	s_delay_alu instid0(VALU_DEP_3) | instskip(SKIP_1) | instid1(VALU_DEP_3)
	v_dual_mul_f32 v107, 0x3e750f2a, v92 :: v_dual_fmamk_f32 v74, v60, 0x3e750f2a, v122
	v_mul_f32_e32 v106, 0xbeb58ec6, v88
	v_dual_add_f32 v50, v52, v50 :: v_dual_add_f32 v49, v25, v49
	v_fmamk_f32 v52, v67, 0x3f116cb1, v105
	v_mul_f32_e32 v110, 0xbf3f9e67, v75
	v_dual_fmamk_f32 v71, v68, 0xbf788fa5, v107 :: v_dual_mul_f32 v116, 0xbf788fa5, v80
	s_delay_alu instid0(VALU_DEP_4) | instskip(NEXT) | instid1(VALU_DEP_4)
	v_add_f32_e32 v49, v51, v49
	v_dual_fmamk_f32 v51, v61, 0x3f52af12, v100 :: v_dual_add_f32 v52, v52, v50
	v_mul_f32_e32 v108, 0xbeb58ec6, v73
	v_mul_f32_e32 v109, 0x3eedf032, v94
	v_dual_mul_f32 v117, 0x3eedf032, v89 :: v_dual_mul_f32 v132, 0x3eedf032, v92
	s_delay_alu instid0(VALU_DEP_4)
	v_add_f32_e32 v49, v51, v49
	v_fmamk_f32 v51, v59, 0xbe750f2a, v102
	v_mul_f32_e32 v130, 0x3f6f5d39, v89
	v_mul_f32_e32 v124, 0xbeb58ec6, v76
	v_fmamk_f32 v134, v68, 0x3f62ad3f, v132
	v_mul_f32_e32 v111, 0xbf6f5d39, v97
	v_add_f32_e32 v49, v51, v49
	v_fmamk_f32 v51, v62, 0xbeedf032, v104
	v_mul_f32_e32 v118, 0x3f116cb1, v88
	v_mul_f32_e32 v120, 0x3df6dbef, v73
	;; [unrolled: 1-line block ×3, first 2 shown]
	v_dual_mul_f32 v125, 0xbf7e222b, v82 :: v_dual_add_f32 v26, v26, v24
	v_add_f32_e32 v49, v51, v49
	v_fmamk_f32 v51, v65, 0x3f6f5d39, v106
	v_mul_f32_e32 v113, 0xbf6f5d39, v82
	s_delay_alu instid0(VALU_DEP_4) | instskip(NEXT) | instid1(VALU_DEP_3)
	v_dual_mul_f32 v131, 0xbf3f9e67, v88 :: v_dual_add_f32 v26, v32, v26
	v_dual_mul_f32 v115, 0x3f29c268, v84 :: v_dual_add_f32 v50, v51, v49
	v_add_f32_e32 v51, v71, v52
	v_fmamk_f32 v49, v63, 0x3f6f5d39, v108
	v_fmamk_f32 v52, v70, 0x3f62ad3f, v109
	;; [unrolled: 1-line block ×3, first 2 shown]
	v_mul_f32_e32 v136, 0xbeb58ec6, v75
	s_delay_alu instid0(VALU_DEP_4) | instskip(NEXT) | instid1(VALU_DEP_4)
	v_dual_mul_f32 v142, 0x3df6dbef, v80 :: v_dual_add_f32 v49, v25, v49
	v_dual_add_f32 v51, v52, v51 :: v_dual_fmamk_f32 v52, v69, 0xbeb58ec6, v111
	v_mul_f32_e32 v119, 0xbf7e222b, v92
	s_delay_alu instid0(VALU_DEP_4) | instskip(NEXT) | instid1(VALU_DEP_4)
	v_fmamk_f32 v137, v60, 0x3f6f5d39, v136
	v_add_f32_e32 v71, v71, v49
	v_mul_f32_e32 v141, 0xbf3f9e67, v78
	v_add_f32_e32 v49, v52, v51
	v_fmamk_f32 v51, v64, 0xbeb58ec6, v113
	v_mul_f32_e32 v148, 0x3f7e222b, v94
	v_dual_add_f32 v52, v72, v71 :: v_dual_fmamk_f32 v71, v59, 0x3f7e222b, v114
	v_mul_f32_e32 v135, 0xbf52af12, v94
	v_mul_f32_e32 v139, 0xbf52af12, v82
	v_dual_mul_f32 v126, 0x3f62ad3f, v78 :: v_dual_add_f32 v27, v27, v25
	s_delay_alu instid0(VALU_DEP_4) | instskip(SKIP_3) | instid1(VALU_DEP_4)
	v_dual_add_f32 v52, v71, v52 :: v_dual_fmamk_f32 v71, v62, 0xbe750f2a, v116
	v_fmac_f32_e32 v85, 0xbf6f5d39, v62
	v_fmac_f32_e32 v77, 0xbe750f2a, v63
	;; [unrolled: 1-line block ×3, first 2 shown]
	v_dual_fmac_f32 v81, 0xbf29c268, v61 :: v_dual_add_f32 v52, v71, v52
	v_fmamk_f32 v71, v65, 0xbf52af12, v118
	v_fmac_f32_e32 v83, 0x3f52af12, v59
	v_fmac_f32_e32 v95, 0xbf29c268, v63
	;; [unrolled: 1-line block ×3, first 2 shown]
	v_mul_f32_e32 v138, 0xbf788fa5, v76
	v_add_f32_e32 v52, v71, v52
	v_fmamk_f32 v71, v63, 0x3f7e222b, v120
	v_mul_f32_e32 v121, 0x3e750f2a, v94
	v_mul_f32_e32 v133, 0x3f116cb1, v73
	v_fmamk_f32 v140, v61, 0x3e750f2a, v138
	s_delay_alu instid0(VALU_DEP_4) | instskip(SKIP_2) | instid1(VALU_DEP_3)
	v_dual_mul_f32 v78, 0xbeb58ec6, v78 :: v_dual_add_f32 v71, v25, v71
	v_dual_add_f32 v26, v34, v26 :: v_dual_mul_f32 v75, 0x3f116cb1, v75
	v_mul_f32_e32 v146, 0x3f29c268, v92
	v_dual_fmac_f32 v100, 0xbf52af12, v61 :: v_dual_add_f32 v71, v74, v71
	v_fmamk_f32 v74, v61, 0xbf6f5d39, v124
	s_delay_alu instid0(VALU_DEP_4) | instskip(SKIP_2) | instid1(VALU_DEP_4)
	v_add_f32_e32 v26, v40, v26
	v_mul_f32_e32 v40, 0xbf7e222b, v89
	v_mul_f32_e32 v76, 0x3df6dbef, v76
	v_dual_fmac_f32 v106, 0xbf6f5d39, v65 :: v_dual_add_f32 v71, v74, v71
	v_fmamk_f32 v74, v59, 0xbeedf032, v126
	v_mul_f32_e32 v128, 0x3f116cb1, v80
	v_mul_f32_e32 v80, 0xbf3f9e67, v80
	v_add_f32_e32 v26, v42, v26
	s_delay_alu instid0(VALU_DEP_4) | instskip(NEXT) | instid1(VALU_DEP_4)
	v_dual_fmac_f32 v110, 0x3f29c268, v60 :: v_dual_add_f32 v71, v74, v71
	v_dual_mul_f32 v123, 0x3f52af12, v97 :: v_dual_fmamk_f32 v74, v62, 0x3f52af12, v128
	s_delay_alu instid0(VALU_DEP_3) | instskip(SKIP_1) | instid1(VALU_DEP_3)
	v_add_f32_e32 v26, v36, v26
	v_dual_mul_f32 v36, 0xbf6f5d39, v92 :: v_dual_add_f32 v27, v33, v27
	v_dual_fmac_f32 v98, 0x3f7e222b, v60 :: v_dual_add_f32 v71, v74, v71
	v_dual_fmamk_f32 v74, v65, 0x3f29c268, v131 :: v_dual_add_f32 v51, v24, v51
	v_fmamk_f32 v72, v66, 0xbf3f9e67, v115
	s_delay_alu instid0(VALU_DEP_4) | instskip(SKIP_2) | instid1(VALU_DEP_4)
	v_dual_add_f32 v26, v38, v26 :: v_dual_add_f32 v27, v35, v27
	v_mul_f32_e32 v35, 0xbeedf032, v82
	v_mul_f32_e32 v147, 0x3f62ad3f, v73
	v_dual_add_f32 v51, v72, v51 :: v_dual_fmamk_f32 v72, v67, 0x3f62ad3f, v117
	s_delay_alu instid0(VALU_DEP_4) | instskip(NEXT) | instid1(VALU_DEP_4)
	v_dual_add_f32 v26, v28, v26 :: v_dual_add_f32 v27, v41, v27
	v_fmamk_f32 v34, v64, 0x3f62ad3f, v35
	v_mul_f32_e32 v41, 0xbf52af12, v84
	s_delay_alu instid0(VALU_DEP_4) | instskip(NEXT) | instid1(VALU_DEP_4)
	v_add_f32_e32 v51, v72, v51
	v_dual_fmamk_f32 v72, v68, 0x3df6dbef, v119 :: v_dual_add_f32 v27, v43, v27
	v_add_f32_e32 v26, v30, v26
	v_fma_f32 v30, 0xbeb58ec6, v70, -v96
	s_delay_alu instid0(VALU_DEP_3) | instskip(NEXT) | instid1(VALU_DEP_4)
	v_dual_mul_f32 v38, 0xbf29c268, v94 :: v_dual_add_f32 v51, v72, v51
	v_dual_fmamk_f32 v72, v70, 0xbf788fa5, v121 :: v_dual_add_f32 v27, v37, v27
	s_delay_alu instid0(VALU_DEP_4) | instskip(SKIP_2) | instid1(VALU_DEP_4)
	v_add_f32_e32 v0, v0, v26
	v_fmamk_f32 v149, v60, 0x3f52af12, v75
	v_fma_f32 v43, 0xbf788fa5, v66, -v127
	v_dual_add_f32 v51, v72, v51 :: v_dual_fmamk_f32 v72, v69, 0x3f116cb1, v123
	s_delay_alu instid0(VALU_DEP_4) | instskip(SKIP_1) | instid1(VALU_DEP_3)
	v_dual_add_f32 v27, v39, v27 :: v_dual_add_f32 v0, v2, v0
	v_fmac_f32_e32 v102, 0x3e750f2a, v59
	v_dual_fmac_f32 v104, 0x3eedf032, v62 :: v_dual_add_f32 v51, v72, v51
	s_delay_alu instid0(VALU_DEP_3) | instskip(SKIP_3) | instid1(VALU_DEP_4)
	v_dual_fmamk_f32 v72, v64, 0x3df6dbef, v125 :: v_dual_add_f32 v29, v29, v27
	v_fmac_f32_e32 v108, 0xbf6f5d39, v63
	v_fmac_f32_e32 v116, 0x3e750f2a, v62
	v_add_f32_e32 v0, v45, v0
	v_dual_add_f32 v72, v24, v72 :: v_dual_add_f32 v29, v31, v29
	v_fmamk_f32 v31, v70, 0xbf3f9e67, v38
	v_fmac_f32_e32 v118, 0x3f52af12, v65
	v_fmac_f32_e32 v120, 0xbf7e222b, v63
	s_delay_alu instid0(VALU_DEP_4) | instskip(SKIP_2) | instid1(VALU_DEP_3)
	v_dual_add_f32 v72, v129, v72 :: v_dual_fmamk_f32 v129, v67, 0xbeb58ec6, v130
	v_dual_add_f32 v1, v1, v29 :: v_dual_fmac_f32 v122, 0xbe750f2a, v60
	v_fmac_f32_e32 v124, 0x3f6f5d39, v61
	v_dual_fmac_f32 v126, 0x3eedf032, v59 :: v_dual_add_f32 v129, v129, v72
	v_dual_add_f32 v72, v74, v71 :: v_dual_fmamk_f32 v71, v63, 0x3f52af12, v133
	s_delay_alu instid0(VALU_DEP_4) | instskip(SKIP_1) | instid1(VALU_DEP_4)
	v_add_f32_e32 v1, v3, v1
	v_add_f32_e32 v3, v25, v77
	;; [unrolled: 1-line block ×3, first 2 shown]
	v_fmamk_f32 v129, v70, 0x3f116cb1, v135
	v_dual_mul_f32 v134, 0xbf29c268, v97 :: v_dual_add_f32 v71, v25, v71
	s_delay_alu instid0(VALU_DEP_4) | instskip(NEXT) | instid1(VALU_DEP_3)
	v_add_f32_e32 v2, v79, v3
	v_dual_fmac_f32 v133, 0xbf52af12, v63 :: v_dual_add_f32 v74, v129, v74
	s_delay_alu instid0(VALU_DEP_3) | instskip(NEXT) | instid1(VALU_DEP_4)
	v_fmamk_f32 v129, v69, 0xbf3f9e67, v134
	v_add_f32_e32 v137, v137, v71
	s_delay_alu instid0(VALU_DEP_4) | instskip(SKIP_1) | instid1(VALU_DEP_4)
	v_add_f32_e32 v2, v81, v2
	v_fmac_f32_e32 v112, 0x3eedf032, v61
	v_dual_fmac_f32 v114, 0xbf7e222b, v59 :: v_dual_add_f32 v71, v129, v74
	v_fmamk_f32 v74, v64, 0x3f116cb1, v139
	v_mul_f32_e32 v129, 0xbf6f5d39, v84
	v_dual_add_f32 v137, v140, v137 :: v_dual_fmamk_f32 v140, v59, 0xbf29c268, v141
	v_add_f32_e32 v2, v83, v2
	s_delay_alu instid0(VALU_DEP_3) | instskip(NEXT) | instid1(VALU_DEP_3)
	v_dual_add_f32 v74, v24, v74 :: v_dual_fmamk_f32 v143, v66, 0xbeb58ec6, v129
	v_dual_fmac_f32 v128, 0xbf52af12, v62 :: v_dual_add_f32 v137, v140, v137
	v_fmamk_f32 v140, v62, 0xbf7e222b, v142
	s_delay_alu instid0(VALU_DEP_4) | instskip(NEXT) | instid1(VALU_DEP_4)
	v_add_f32_e32 v2, v85, v2
	v_add_f32_e32 v74, v143, v74
	v_fmamk_f32 v143, v67, 0xbf788fa5, v144
	v_fmac_f32_e32 v136, 0xbf6f5d39, v60
	v_fmac_f32_e32 v138, 0xbe750f2a, v61
	;; [unrolled: 1-line block ×3, first 2 shown]
	s_delay_alu instid0(VALU_DEP_4) | instskip(SKIP_1) | instid1(VALU_DEP_1)
	v_add_f32_e32 v73, v143, v74
	v_fmamk_f32 v143, v68, 0xbf3f9e67, v146
	v_add_f32_e32 v73, v143, v73
	v_mul_f32_e32 v143, 0x3eedf032, v97
	v_mul_f32_e32 v145, 0x3f62ad3f, v88
	s_delay_alu instid0(VALU_DEP_1) | instskip(NEXT) | instid1(VALU_DEP_1)
	v_dual_add_f32 v137, v140, v137 :: v_dual_fmamk_f32 v140, v65, 0xbeedf032, v145
	v_dual_add_f32 v74, v140, v137 :: v_dual_fmamk_f32 v137, v63, 0x3eedf032, v147
	s_delay_alu instid0(VALU_DEP_1) | instskip(NEXT) | instid1(VALU_DEP_1)
	v_dual_fmamk_f32 v140, v70, 0x3df6dbef, v148 :: v_dual_add_f32 v137, v25, v137
	v_add_f32_e32 v73, v140, v73
	s_delay_alu instid0(VALU_DEP_2) | instskip(SKIP_2) | instid1(VALU_DEP_2)
	v_add_f32_e32 v137, v149, v137
	v_fmamk_f32 v149, v61, 0x3f7e222b, v76
	v_fmac_f32_e32 v76, 0xbf7e222b, v61
	v_add_f32_e32 v33, v149, v137
	v_fmamk_f32 v137, v59, 0x3f6f5d39, v78
	v_fmac_f32_e32 v78, 0xbf6f5d39, v59
	s_delay_alu instid0(VALU_DEP_2) | instskip(SKIP_1) | instid1(VALU_DEP_2)
	v_dual_add_f32 v32, v137, v33 :: v_dual_fmamk_f32 v33, v62, 0x3f29c268, v80
	v_fmac_f32_e32 v80, 0xbf29c268, v62
	v_dual_add_f32 v32, v33, v32 :: v_dual_add_f32 v33, v24, v34
	v_fmamk_f32 v34, v66, 0x3f116cb1, v41
	s_delay_alu instid0(VALU_DEP_1) | instskip(NEXT) | instid1(VALU_DEP_1)
	v_dual_add_f32 v33, v34, v33 :: v_dual_fmamk_f32 v34, v67, 0x3df6dbef, v40
	v_dual_add_f32 v33, v34, v33 :: v_dual_fmamk_f32 v34, v68, 0xbeb58ec6, v36
	s_delay_alu instid0(VALU_DEP_1) | instskip(SKIP_2) | instid1(VALU_DEP_2)
	v_add_f32_e32 v28, v34, v33
	v_mul_f32_e32 v34, 0xbe750f2a, v97
	v_fma_f32 v33, 0xbf3f9e67, v66, -v115
	v_dual_add_f32 v28, v31, v28 :: v_dual_fmamk_f32 v29, v69, 0xbf788fa5, v34
	v_fma_f32 v34, 0xbf788fa5, v69, -v34
	s_delay_alu instid0(VALU_DEP_2) | instskip(SKIP_4) | instid1(VALU_DEP_4)
	v_add_f32_e32 v26, v29, v28
	v_fma_f32 v28, 0xbf788fa5, v64, -v86
	v_add_f32_e32 v29, v25, v95
	v_fmamk_f32 v140, v69, 0x3f62ad3f, v143
	v_fmac_f32_e32 v145, 0x3eedf032, v65
	v_add_f32_e32 v3, v24, v28
	v_fma_f32 v28, 0x3f62ad3f, v66, -v87
	v_add_f32_e32 v29, v98, v29
	v_add_f32_e32 v73, v140, v73
	s_delay_alu instid0(VALU_DEP_3) | instskip(SKIP_1) | instid1(VALU_DEP_4)
	v_add_f32_e32 v3, v28, v3
	v_fma_f32 v28, 0xbf3f9e67, v67, -v90
	v_add_f32_e32 v29, v100, v29
	s_delay_alu instid0(VALU_DEP_2) | instskip(SKIP_1) | instid1(VALU_DEP_3)
	v_add_f32_e32 v3, v28, v3
	v_fma_f32 v28, 0x3f116cb1, v68, -v93
	v_add_f32_e32 v29, v102, v29
	s_delay_alu instid0(VALU_DEP_2) | instskip(SKIP_3) | instid1(VALU_DEP_4)
	v_dual_mul_f32 v37, 0xbf788fa5, v88 :: v_dual_add_f32 v28, v28, v3
	v_add_f32_e32 v3, v91, v2
	v_fma_f32 v2, 0xbf3f9e67, v64, -v101
	v_fma_f32 v35, 0x3f62ad3f, v64, -v35
	v_add_f32_e32 v28, v30, v28
	v_fma_f32 v30, 0x3df6dbef, v69, -v99
	s_delay_alu instid0(VALU_DEP_1) | instskip(SKIP_1) | instid1(VALU_DEP_1)
	v_dual_add_f32 v31, v24, v2 :: v_dual_add_f32 v2, v30, v28
	v_dual_add_f32 v28, v104, v29 :: v_dual_fmamk_f32 v39, v65, 0x3e750f2a, v37
	v_add_f32_e32 v29, v106, v28
	s_delay_alu instid0(VALU_DEP_2) | instskip(SKIP_3) | instid1(VALU_DEP_3)
	v_add_f32_e32 v27, v39, v32
	v_fma_f32 v32, 0x3df6dbef, v66, -v103
	v_fma_f32 v28, 0xbeb58ec6, v64, -v113
	;; [unrolled: 1-line block ×3, first 2 shown]
	v_add_f32_e32 v30, v32, v31
	v_fma_f32 v31, 0x3f116cb1, v67, -v105
	v_add_f32_e32 v32, v25, v108
	v_add_f32_e32 v28, v24, v28
	s_delay_alu instid0(VALU_DEP_3) | instskip(SKIP_1) | instid1(VALU_DEP_4)
	v_add_f32_e32 v30, v31, v30
	v_fma_f32 v31, 0xbf788fa5, v68, -v107
	v_add_f32_e32 v32, v110, v32
	s_delay_alu instid0(VALU_DEP_4) | instskip(SKIP_1) | instid1(VALU_DEP_4)
	v_add_f32_e32 v28, v33, v28
	v_fma_f32 v33, 0x3f62ad3f, v67, -v117
	v_add_f32_e32 v30, v31, v30
	v_fma_f32 v31, 0x3f62ad3f, v70, -v109
	v_dual_add_f32 v32, v112, v32 :: v_dual_add_f32 v1, v46, v1
	s_delay_alu instid0(VALU_DEP_4) | instskip(SKIP_1) | instid1(VALU_DEP_4)
	v_add_f32_e32 v33, v33, v28
	v_fma_f32 v46, 0xbeb58ec6, v66, -v129
	v_add_f32_e32 v30, v31, v30
	v_fma_f32 v31, 0xbeb58ec6, v69, -v111
	v_dual_add_f32 v32, v114, v32 :: v_dual_fmac_f32 v141, 0x3f29c268, v59
	s_delay_alu instid0(VALU_DEP_2) | instskip(NEXT) | instid1(VALU_DEP_2)
	v_add_f32_e32 v28, v31, v30
	v_add_f32_e32 v30, v116, v32
	;; [unrolled: 1-line block ×3, first 2 shown]
	v_fma_f32 v33, 0xbf788fa5, v70, -v121
	s_delay_alu instid0(VALU_DEP_3) | instskip(SKIP_1) | instid1(VALU_DEP_3)
	v_add_f32_e32 v31, v118, v30
	v_fma_f32 v30, 0x3df6dbef, v64, -v125
	v_add_f32_e32 v32, v33, v32
	v_fma_f32 v33, 0x3f116cb1, v69, -v123
	s_delay_alu instid0(VALU_DEP_3) | instskip(NEXT) | instid1(VALU_DEP_1)
	v_add_f32_e32 v42, v24, v30
	v_dual_add_f32 v30, v33, v32 :: v_dual_add_f32 v33, v43, v42
	v_add_f32_e32 v42, v25, v133
	v_add_f32_e32 v39, v25, v120
	v_fma_f32 v43, 0x3f116cb1, v70, -v135
	s_delay_alu instid0(VALU_DEP_2) | instskip(NEXT) | instid1(VALU_DEP_1)
	v_dual_add_f32 v42, v136, v42 :: v_dual_add_f32 v39, v122, v39
	v_dual_fmac_f32 v131, 0xbf29c268, v65 :: v_dual_add_f32 v42, v138, v42
	s_delay_alu instid0(VALU_DEP_2) | instskip(SKIP_1) | instid1(VALU_DEP_3)
	v_add_f32_e32 v32, v124, v39
	v_fma_f32 v39, 0xbeb58ec6, v67, -v130
	v_add_f32_e32 v42, v141, v42
	s_delay_alu instid0(VALU_DEP_2) | instskip(SKIP_1) | instid1(VALU_DEP_1)
	v_dual_add_f32 v32, v126, v32 :: v_dual_add_f32 v33, v39, v33
	v_fma_f32 v39, 0x3f62ad3f, v68, -v132
	v_dual_add_f32 v32, v128, v32 :: v_dual_add_f32 v39, v39, v33
	s_delay_alu instid0(VALU_DEP_1) | instskip(SKIP_1) | instid1(VALU_DEP_3)
	v_add_f32_e32 v33, v131, v32
	v_fma_f32 v32, 0x3f116cb1, v64, -v139
	v_add_f32_e32 v39, v43, v39
	v_fma_f32 v43, 0xbf3f9e67, v69, -v134
	s_delay_alu instid0(VALU_DEP_3) | instskip(SKIP_1) | instid1(VALU_DEP_3)
	v_add_f32_e32 v45, v24, v32
	v_add_f32_e32 v24, v24, v35
	v_dual_add_f32 v32, v43, v39 :: v_dual_add_f32 v39, v142, v42
	v_fma_f32 v35, 0x3f116cb1, v66, -v41
	s_delay_alu instid0(VALU_DEP_4) | instskip(SKIP_1) | instid1(VALU_DEP_3)
	v_dual_fmac_f32 v147, 0xbeedf032, v63 :: v_dual_add_f32 v42, v46, v45
	v_fma_f32 v43, 0xbf788fa5, v67, -v144
	v_add_f32_e32 v24, v35, v24
	v_fma_f32 v35, 0x3df6dbef, v67, -v40
	s_delay_alu instid0(VALU_DEP_3) | instskip(SKIP_1) | instid1(VALU_DEP_3)
	v_add_f32_e32 v41, v43, v42
	v_fma_f32 v42, 0xbf3f9e67, v68, -v146
	v_dual_add_f32 v25, v25, v147 :: v_dual_add_f32 v24, v35, v24
	v_fma_f32 v35, 0xbeb58ec6, v68, -v36
	s_delay_alu instid0(VALU_DEP_3) | instskip(SKIP_1) | instid1(VALU_DEP_3)
	v_add_f32_e32 v40, v42, v41
	v_fma_f32 v41, 0x3df6dbef, v70, -v148
	v_add_f32_e32 v24, v35, v24
	v_fma_f32 v35, 0xbf3f9e67, v70, -v38
	s_delay_alu instid0(VALU_DEP_3) | instskip(SKIP_2) | instid1(VALU_DEP_4)
	v_dual_fmac_f32 v37, 0xbe750f2a, v65 :: v_dual_add_f32 v36, v41, v40
	v_and_b32_e32 v40, 0xffff, v56
	v_fma_f32 v38, 0x3f62ad3f, v69, -v143
	v_add_f32_e32 v42, v35, v24
	v_fmac_f32_e32 v75, 0xbf52af12, v60
	s_delay_alu instid0(VALU_DEP_4) | instskip(NEXT) | instid1(VALU_DEP_4)
	v_lshl_add_u32 v40, v40, 3, v55
	v_add_f32_e32 v24, v38, v36
	s_delay_alu instid0(VALU_DEP_3) | instskip(NEXT) | instid1(VALU_DEP_1)
	v_dual_add_f32 v34, v34, v42 :: v_dual_add_f32 v25, v75, v25
	v_add_f32_e32 v25, v76, v25
	s_delay_alu instid0(VALU_DEP_1) | instskip(NEXT) | instid1(VALU_DEP_1)
	v_add_f32_e32 v25, v78, v25
	v_add_f32_e32 v41, v80, v25
	;; [unrolled: 1-line block ×3, first 2 shown]
	s_delay_alu instid0(VALU_DEP_2)
	v_add_f32_e32 v35, v37, v41
	ds_store_2addr_b64 v40, v[0:1], v[26:27] offset1:1
	ds_store_2addr_b64 v40, v[73:74], v[71:72] offset0:2 offset1:3
	ds_store_2addr_b64 v40, v[51:52], v[49:50] offset0:4 offset1:5
	;; [unrolled: 1-line block ×5, first 2 shown]
	ds_store_b64 v40, v[34:35] offset:96
.LBB0_13:
	s_wait_alu 0xfffe
	s_or_b32 exec_lo, exec_lo, s4
	global_wb scope:SCOPE_SE
	s_wait_dscnt 0x0
	s_barrier_signal -1
	s_barrier_wait -1
	global_inv scope:SCOPE_SE
	ds_load_2addr_b64 v[0:3], v58 offset1:13
	ds_load_2addr_b64 v[24:27], v58 offset0:26 offset1:39
	ds_load_2addr_b64 v[28:31], v58 offset0:52 offset1:65
	ds_load_2addr_b64 v[32:35], v58 offset0:78 offset1:91
	ds_load_2addr_b64 v[36:39], v58 offset0:104 offset1:117
	ds_load_b64 v[40:41], v58 offset:1040
	s_wait_dscnt 0x4
	v_dual_mul_f32 v42, v21, v3 :: v_dual_mul_f32 v43, v23, v25
	s_wait_dscnt 0x3
	v_dual_mul_f32 v21, v21, v2 :: v_dual_mul_f32 v46, v15, v29
	s_delay_alu instid0(VALU_DEP_2) | instskip(SKIP_2) | instid1(VALU_DEP_3)
	v_dual_mul_f32 v23, v23, v24 :: v_dual_fmac_f32 v42, v20, v2
	s_wait_dscnt 0x2
	v_dual_mul_f32 v45, v13, v27 :: v_dual_mul_f32 v48, v11, v33
	v_fma_f32 v2, v20, v3, -v21
	s_wait_dscnt 0x1
	v_dual_mul_f32 v13, v13, v26 :: v_dual_mul_f32 v50, v7, v37
	v_dual_mul_f32 v15, v15, v28 :: v_dual_add_f32 v20, v0, v42
	v_mul_f32_e32 v11, v11, v32
	v_fmac_f32_e32 v43, v22, v24
	v_add_f32_e32 v21, v1, v2
	v_mul_f32_e32 v3, v7, v36
	v_fma_f32 v7, v22, v25, -v23
	v_dual_mul_f32 v22, v17, v39 :: v_dual_fmac_f32 v45, v12, v26
	v_fma_f32 v12, v12, v27, -v13
	v_dual_mul_f32 v47, v9, v31 :: v_dual_fmac_f32 v46, v14, v28
	s_delay_alu instid0(VALU_DEP_3)
	v_fmac_f32_e32 v22, v16, v38
	v_add_f32_e32 v13, v20, v43
	v_add_f32_e32 v20, v21, v7
	v_mul_f32_e32 v9, v9, v30
	v_fma_f32 v14, v14, v29, -v15
	v_fmac_f32_e32 v47, v8, v30
	v_dual_mul_f32 v49, v5, v35 :: v_dual_fmac_f32 v48, v10, v32
	s_wait_dscnt 0x0
	v_dual_add_f32 v15, v20, v12 :: v_dual_mul_f32 v20, v19, v41
	v_fma_f32 v8, v8, v31, -v9
	v_dual_mul_f32 v5, v5, v34 :: v_dual_fmac_f32 v50, v6, v36
	v_fma_f32 v6, v6, v37, -v3
	s_delay_alu instid0(VALU_DEP_4)
	v_dual_fmac_f32 v20, v18, v40 :: v_dual_add_f32 v13, v13, v45
	v_fma_f32 v10, v10, v33, -v11
	v_fmac_f32_e32 v49, v4, v34
	v_fma_f32 v4, v4, v35, -v5
	v_add_f32_e32 v36, v43, v22
	v_add_f32_e32 v9, v13, v46
	;; [unrolled: 1-line block ×3, first 2 shown]
	v_mul_f32_e32 v15, v19, v40
	s_delay_alu instid0(VALU_DEP_2) | instskip(NEXT) | instid1(VALU_DEP_2)
	v_add_f32_e32 v11, v13, v8
	v_fma_f32 v3, v18, v41, -v15
	v_add_f32_e32 v15, v42, v20
	v_mul_f32_e32 v17, v17, v38
	v_add_f32_e32 v9, v9, v47
	s_delay_alu instid0(VALU_DEP_2) | instskip(SKIP_1) | instid1(VALU_DEP_3)
	v_fma_f32 v13, v16, v39, -v17
	v_add_f32_e32 v17, v2, v3
	v_add_f32_e32 v5, v9, v48
	;; [unrolled: 1-line block ×3, first 2 shown]
	s_delay_alu instid0(VALU_DEP_4) | instskip(NEXT) | instid1(VALU_DEP_4)
	v_sub_f32_e32 v35, v7, v13
	v_mul_f32_e32 v31, 0xbf27a4f4, v17
	v_sub_f32_e32 v11, v2, v3
	s_delay_alu instid0(VALU_DEP_1) | instskip(NEXT) | instid1(VALU_DEP_1)
	v_dual_add_f32 v7, v7, v13 :: v_dual_mul_f32 v28, 0xbf4178ce, v11
	v_dual_add_f32 v5, v5, v49 :: v_dual_fmamk_f32 v30, v15, 0xbf27a4f4, v28
	v_add_f32_e32 v9, v9, v4
	v_fma_f32 v28, 0xbf27a4f4, v15, -v28
	s_delay_alu instid0(VALU_DEP_3) | instskip(NEXT) | instid1(VALU_DEP_4)
	v_add_f32_e32 v5, v5, v50
	v_add_f32_e32 v30, v0, v30
	s_delay_alu instid0(VALU_DEP_3) | instskip(NEXT) | instid1(VALU_DEP_3)
	v_dual_add_f32 v9, v9, v6 :: v_dual_add_f32 v28, v0, v28
	v_add_f32_e32 v2, v5, v22
	s_delay_alu instid0(VALU_DEP_2) | instskip(SKIP_1) | instid1(VALU_DEP_3)
	v_add_f32_e32 v5, v9, v13
	v_sub_f32_e32 v9, v42, v20
	v_dual_add_f32 v2, v2, v20 :: v_dual_mul_f32 v13, 0xbf68dda4, v35
	s_delay_alu instid0(VALU_DEP_3) | instskip(NEXT) | instid1(VALU_DEP_3)
	v_add_f32_e32 v3, v5, v3
	v_fmamk_f32 v32, v9, 0x3f4178ce, v31
	v_mul_f32_e32 v16, 0xbf0a6770, v11
	v_mul_f32_e32 v20, 0xbf68dda4, v11
	s_delay_alu instid0(VALU_DEP_3) | instskip(SKIP_3) | instid1(VALU_DEP_1)
	v_dual_add_f32 v32, v1, v32 :: v_dual_mul_f32 v19, 0x3f575c64, v17
	v_mul_f32_e32 v21, 0x3ed4b147, v17
	v_mul_f32_e32 v27, 0xbe11bafb, v17
	v_mul_f32_e32 v17, 0xbf75a155, v17
	v_fmamk_f32 v34, v9, 0x3e903f40, v17
	v_fmamk_f32 v18, v15, 0x3f575c64, v16
	v_fma_f32 v16, 0x3f575c64, v15, -v16
	s_delay_alu instid0(VALU_DEP_3) | instskip(SKIP_4) | instid1(VALU_DEP_4)
	v_add_f32_e32 v34, v1, v34
	v_fmamk_f32 v29, v9, 0x3f7d64f0, v27
	v_fmac_f32_e32 v31, 0xbf4178ce, v9
	v_dual_fmamk_f32 v24, v9, 0x3f68dda4, v21 :: v_dual_add_f32 v5, v0, v18
	v_fmamk_f32 v18, v9, 0x3f0a6770, v19
	v_add_f32_e32 v29, v1, v29
	v_mul_f32_e32 v25, 0xbf7d64f0, v11
	v_mul_f32_e32 v11, 0xbe903f40, v11
	v_add_f32_e32 v31, v1, v31
	v_dual_fmac_f32 v21, 0xbf68dda4, v9 :: v_dual_add_f32 v24, v1, v24
	v_fmac_f32_e32 v19, 0xbf0a6770, v9
	v_fmamk_f32 v26, v15, 0xbe11bafb, v25
	v_fma_f32 v25, 0xbe11bafb, v15, -v25
	s_delay_alu instid0(VALU_DEP_4)
	v_add_f32_e32 v21, v1, v21
	v_fmamk_f32 v23, v15, 0x3ed4b147, v20
	v_fma_f32 v20, 0x3ed4b147, v15, -v20
	v_fmac_f32_e32 v27, 0xbf7d64f0, v9
	v_fmamk_f32 v33, v15, 0xbf75a155, v11
	v_fma_f32 v11, 0xbf75a155, v15, -v11
	v_fmac_f32_e32 v17, 0xbe903f40, v9
	v_sub_f32_e32 v9, v43, v22
	v_dual_mul_f32 v15, 0x3ed4b147, v7 :: v_dual_add_f32 v18, v1, v18
	v_add_f32_e32 v19, v1, v19
	v_add_f32_e32 v33, v0, v33
	;; [unrolled: 1-line block ×4, first 2 shown]
	v_dual_fmamk_f32 v17, v9, 0x3f68dda4, v15 :: v_dual_add_f32 v16, v0, v16
	v_add_f32_e32 v20, v0, v20
	v_add_f32_e32 v26, v0, v26
	;; [unrolled: 1-line block ×3, first 2 shown]
	s_delay_alu instid0(VALU_DEP_4)
	v_dual_fmamk_f32 v22, v36, 0x3ed4b147, v13 :: v_dual_add_f32 v17, v17, v18
	v_mul_f32_e32 v18, 0xbf27a4f4, v7
	v_add_f32_e32 v23, v0, v23
	v_add_f32_e32 v0, v0, v11
	v_mul_f32_e32 v11, 0xbf4178ce, v35
	v_add_f32_e32 v5, v22, v5
	v_fma_f32 v13, 0x3ed4b147, v36, -v13
	v_fmac_f32_e32 v15, 0xbf68dda4, v9
	s_delay_alu instid0(VALU_DEP_4) | instskip(SKIP_1) | instid1(VALU_DEP_2)
	v_fmamk_f32 v22, v36, 0xbf27a4f4, v11
	v_fma_f32 v11, 0xbf27a4f4, v36, -v11
	v_dual_add_f32 v13, v13, v16 :: v_dual_add_f32 v16, v22, v23
	v_fmamk_f32 v22, v9, 0x3f4178ce, v18
	v_dual_fmac_f32 v18, 0xbf4178ce, v9 :: v_dual_add_f32 v15, v15, v19
	v_mul_f32_e32 v19, 0x3e903f40, v35
	s_delay_alu instid0(VALU_DEP_3) | instskip(SKIP_1) | instid1(VALU_DEP_3)
	v_dual_mul_f32 v23, 0xbf75a155, v7 :: v_dual_add_f32 v22, v22, v24
	v_dual_add_f32 v11, v11, v20 :: v_dual_mul_f32 v24, 0x3f7d64f0, v35
	v_fmamk_f32 v37, v36, 0xbf75a155, v19
	s_delay_alu instid0(VALU_DEP_3) | instskip(SKIP_1) | instid1(VALU_DEP_3)
	v_fmamk_f32 v20, v9, 0xbe903f40, v23
	v_fma_f32 v19, 0xbf75a155, v36, -v19
	v_dual_add_f32 v18, v18, v21 :: v_dual_add_f32 v21, v37, v26
	s_delay_alu instid0(VALU_DEP_3) | instskip(SKIP_1) | instid1(VALU_DEP_4)
	v_add_f32_e32 v20, v20, v29
	v_fmamk_f32 v29, v36, 0xbe11bafb, v24
	v_add_f32_e32 v19, v19, v25
	v_mul_f32_e32 v25, 0x3f0a6770, v35
	v_mul_f32_e32 v26, 0xbe11bafb, v7
	v_fma_f32 v24, 0xbe11bafb, v36, -v24
	v_add_f32_e32 v29, v29, v30
	s_delay_alu instid0(VALU_DEP_4) | instskip(SKIP_1) | instid1(VALU_DEP_4)
	v_dual_mul_f32 v7, 0x3f575c64, v7 :: v_dual_fmamk_f32 v30, v36, 0x3f575c64, v25
	v_fma_f32 v25, 0x3f575c64, v36, -v25
	v_add_f32_e32 v24, v24, v28
	s_delay_alu instid0(VALU_DEP_3) | instskip(NEXT) | instid1(VALU_DEP_3)
	v_add_f32_e32 v28, v30, v33
	v_dual_add_f32 v0, v25, v0 :: v_dual_fmac_f32 v23, 0x3e903f40, v9
	v_sub_f32_e32 v30, v12, v6
	v_add_f32_e32 v6, v12, v6
	s_delay_alu instid0(VALU_DEP_3) | instskip(SKIP_2) | instid1(VALU_DEP_4)
	v_dual_add_f32 v12, v45, v50 :: v_dual_add_f32 v23, v23, v27
	v_fmamk_f32 v27, v9, 0xbf7d64f0, v26
	v_fmac_f32_e32 v26, 0x3f7d64f0, v9
	v_mul_f32_e32 v33, 0xbe11bafb, v6
	v_mul_f32_e32 v25, 0x3e903f40, v30
	;; [unrolled: 1-line block ×3, first 2 shown]
	v_dual_add_f32 v27, v27, v32 :: v_dual_mul_f32 v32, 0xbf7d64f0, v30
	v_dual_add_f32 v26, v26, v31 :: v_dual_fmamk_f32 v31, v9, 0xbf0a6770, v7
	v_fmac_f32_e32 v7, 0x3f0a6770, v9
	v_sub_f32_e32 v9, v45, v50
	s_delay_alu instid0(VALU_DEP_3) | instskip(NEXT) | instid1(VALU_DEP_3)
	v_dual_add_f32 v31, v31, v34 :: v_dual_fmamk_f32 v34, v12, 0xbe11bafb, v32
	v_add_f32_e32 v1, v7, v1
	s_delay_alu instid0(VALU_DEP_3) | instskip(SKIP_3) | instid1(VALU_DEP_4)
	v_fmamk_f32 v7, v9, 0x3f7d64f0, v33
	v_fma_f32 v32, 0xbe11bafb, v12, -v32
	v_fmac_f32_e32 v33, 0xbf7d64f0, v9
	v_dual_add_f32 v5, v34, v5 :: v_dual_mul_f32 v34, 0xbf75a155, v6
	v_add_f32_e32 v7, v7, v17
	v_fmamk_f32 v17, v12, 0xbf75a155, v25
	v_dual_add_f32 v13, v32, v13 :: v_dual_mul_f32 v32, 0x3f68dda4, v30
	v_add_f32_e32 v15, v33, v15
	v_fma_f32 v25, 0xbf75a155, v12, -v25
	s_delay_alu instid0(VALU_DEP_4)
	v_add_f32_e32 v16, v17, v16
	v_fmamk_f32 v17, v9, 0xbe903f40, v34
	v_fmamk_f32 v33, v12, 0x3ed4b147, v32
	v_fma_f32 v32, 0x3ed4b147, v12, -v32
	v_add_f32_e32 v11, v25, v11
	v_mul_f32_e32 v25, 0xbf0a6770, v30
	v_add_f32_e32 v17, v17, v22
	v_add_f32_e32 v21, v33, v21
	v_fmamk_f32 v22, v9, 0xbf68dda4, v35
	v_mul_f32_e32 v33, 0x3f575c64, v6
	v_dual_add_f32 v19, v32, v19 :: v_dual_mul_f32 v30, 0xbf4178ce, v30
	v_mul_f32_e32 v6, 0xbf27a4f4, v6
	s_delay_alu instid0(VALU_DEP_4)
	v_add_f32_e32 v20, v22, v20
	v_fmamk_f32 v22, v12, 0x3f575c64, v25
	v_fmamk_f32 v32, v9, 0x3f0a6770, v33
	v_fma_f32 v25, 0x3f575c64, v12, -v25
	v_fmac_f32_e32 v33, 0xbf0a6770, v9
	v_fmac_f32_e32 v34, 0x3e903f40, v9
	v_dual_add_f32 v22, v22, v29 :: v_dual_fmamk_f32 v29, v12, 0xbf27a4f4, v30
	s_delay_alu instid0(VALU_DEP_4) | instskip(NEXT) | instid1(VALU_DEP_4)
	v_add_f32_e32 v24, v25, v24
	v_dual_add_f32 v25, v33, v26 :: v_dual_sub_f32 v26, v14, v4
	v_dual_add_f32 v4, v14, v4 :: v_dual_fmac_f32 v35, 0x3f68dda4, v9
	s_delay_alu instid0(VALU_DEP_4)
	v_add_f32_e32 v28, v29, v28
	v_fmamk_f32 v29, v9, 0x3f4178ce, v6
	v_fma_f32 v12, 0xbf27a4f4, v12, -v30
	v_fmac_f32_e32 v6, 0xbf4178ce, v9
	v_dual_sub_f32 v9, v46, v49 :: v_dual_mul_f32 v30, 0xbf27a4f4, v4
	v_mul_f32_e32 v14, 0xbf4178ce, v26
	s_delay_alu instid0(VALU_DEP_3)
	v_dual_add_f32 v0, v12, v0 :: v_dual_add_f32 v1, v6, v1
	v_dual_mul_f32 v12, 0x3f7d64f0, v26 :: v_dual_add_f32 v27, v32, v27
	v_add_f32_e32 v32, v46, v49
	v_fmamk_f32 v6, v9, 0x3f4178ce, v30
	v_fmac_f32_e32 v30, 0xbf4178ce, v9
	v_dual_add_f32 v18, v34, v18 :: v_dual_add_f32 v23, v35, v23
	s_delay_alu instid0(VALU_DEP_4) | instskip(SKIP_2) | instid1(VALU_DEP_2)
	v_fmamk_f32 v33, v32, 0xbf27a4f4, v14
	v_fma_f32 v14, 0xbf27a4f4, v32, -v14
	v_dual_add_f32 v6, v6, v7 :: v_dual_mul_f32 v7, 0xbe11bafb, v4
	v_add_f32_e32 v13, v14, v13
	v_dual_add_f32 v14, v30, v15 :: v_dual_mul_f32 v15, 0xbf0a6770, v26
	s_delay_alu instid0(VALU_DEP_3)
	v_fmamk_f32 v30, v9, 0xbf7d64f0, v7
	v_add_f32_e32 v29, v29, v31
	v_fmamk_f32 v31, v32, 0xbe11bafb, v12
	v_fma_f32 v12, 0xbe11bafb, v32, -v12
	v_fmac_f32_e32 v7, 0x3f7d64f0, v9
	v_dual_add_f32 v17, v30, v17 :: v_dual_mul_f32 v30, 0x3f575c64, v4
	s_delay_alu instid0(VALU_DEP_4) | instskip(NEXT) | instid1(VALU_DEP_3)
	v_dual_add_f32 v16, v31, v16 :: v_dual_fmamk_f32 v31, v32, 0x3f575c64, v15
	v_dual_add_f32 v11, v12, v11 :: v_dual_add_f32 v12, v7, v18
	v_mul_f32_e32 v7, 0xbe903f40, v26
	v_fma_f32 v15, 0x3f575c64, v32, -v15
	s_delay_alu instid0(VALU_DEP_4)
	v_dual_add_f32 v18, v31, v21 :: v_dual_mul_f32 v31, 0xbf75a155, v4
	v_fmamk_f32 v21, v9, 0x3f0a6770, v30
	v_dual_mul_f32 v4, 0x3ed4b147, v4 :: v_dual_add_f32 v5, v33, v5
	v_fmamk_f32 v33, v32, 0xbf75a155, v7
	v_add_f32_e32 v15, v15, v19
	v_fmamk_f32 v19, v9, 0x3e903f40, v31
	v_fmac_f32_e32 v30, 0xbf0a6770, v9
	v_add_f32_e32 v20, v21, v20
	v_add_f32_e32 v21, v33, v22
	s_delay_alu instid0(VALU_DEP_4) | instskip(SKIP_3) | instid1(VALU_DEP_4)
	v_dual_mul_f32 v22, 0x3f68dda4, v26 :: v_dual_add_f32 v19, v19, v27
	v_fmamk_f32 v27, v9, 0xbf68dda4, v4
	v_add_f32_e32 v23, v30, v23
	v_fma_f32 v7, 0xbf75a155, v32, -v7
	v_fmamk_f32 v26, v32, 0x3ed4b147, v22
	s_delay_alu instid0(VALU_DEP_4) | instskip(SKIP_1) | instid1(VALU_DEP_4)
	v_dual_sub_f32 v30, v8, v10 :: v_dual_add_f32 v27, v27, v29
	v_add_f32_e32 v29, v8, v10
	v_dual_fmac_f32 v31, 0xbe903f40, v9 :: v_dual_add_f32 v24, v7, v24
	s_delay_alu instid0(VALU_DEP_4) | instskip(NEXT) | instid1(VALU_DEP_4)
	v_add_f32_e32 v26, v26, v28
	v_dual_add_f32 v28, v47, v48 :: v_dual_mul_f32 v7, 0xbe903f40, v30
	v_fma_f32 v8, 0x3ed4b147, v32, -v22
	v_fmac_f32_e32 v4, 0x3f68dda4, v9
	v_sub_f32_e32 v22, v47, v48
	v_mul_f32_e32 v10, 0xbf75a155, v29
	v_add_f32_e32 v25, v31, v25
	v_fmamk_f32 v9, v28, 0xbf75a155, v7
	v_add_f32_e32 v31, v8, v0
	v_add_f32_e32 v32, v4, v1
	v_mul_f32_e32 v8, 0x3f0a6770, v30
	v_fmamk_f32 v1, v22, 0x3e903f40, v10
	v_fmac_f32_e32 v10, 0xbe903f40, v22
	v_add_f32_e32 v0, v9, v5
	v_fma_f32 v4, 0xbf75a155, v28, -v7
	v_fmamk_f32 v7, v28, 0x3f575c64, v8
	v_mul_f32_e32 v9, 0x3f575c64, v29
	v_add_f32_e32 v5, v10, v14
	v_fma_f32 v8, 0x3f575c64, v28, -v8
	v_mul_f32_e32 v10, 0xbf4178ce, v30
	v_dual_add_f32 v1, v1, v6 :: v_dual_add_f32 v4, v4, v13
	v_dual_add_f32 v6, v7, v16 :: v_dual_fmamk_f32 v7, v22, 0xbf0a6770, v9
	v_fmac_f32_e32 v9, 0x3f0a6770, v22
	v_dual_mul_f32 v13, 0xbf27a4f4, v29 :: v_dual_add_f32 v8, v8, v11
	v_fmamk_f32 v11, v28, 0xbf27a4f4, v10
	s_delay_alu instid0(VALU_DEP_4) | instskip(NEXT) | instid1(VALU_DEP_3)
	v_dual_mul_f32 v14, 0x3f68dda4, v30 :: v_dual_add_f32 v7, v7, v17
	v_dual_add_f32 v9, v9, v12 :: v_dual_fmamk_f32 v12, v22, 0x3f4178ce, v13
	v_fma_f32 v16, 0xbf27a4f4, v28, -v10
	s_delay_alu instid0(VALU_DEP_4) | instskip(NEXT) | instid1(VALU_DEP_4)
	v_dual_add_f32 v10, v11, v18 :: v_dual_mul_f32 v17, 0x3ed4b147, v29
	v_fmamk_f32 v18, v28, 0x3ed4b147, v14
	s_delay_alu instid0(VALU_DEP_4) | instskip(NEXT) | instid1(VALU_DEP_4)
	v_add_f32_e32 v11, v12, v20
	v_add_f32_e32 v12, v16, v15
	v_fma_f32 v16, 0x3ed4b147, v28, -v14
	v_fmamk_f32 v15, v22, 0xbf68dda4, v17
	v_add_f32_e32 v14, v18, v21
	v_mul_f32_e32 v18, 0xbf7d64f0, v30
	s_delay_alu instid0(VALU_DEP_4) | instskip(NEXT) | instid1(VALU_DEP_4)
	v_dual_mul_f32 v21, 0xbe11bafb, v29 :: v_dual_add_f32 v16, v16, v24
	v_add_f32_e32 v15, v15, v19
	v_fmac_f32_e32 v17, 0x3f68dda4, v22
	s_delay_alu instid0(VALU_DEP_4) | instskip(NEXT) | instid1(VALU_DEP_4)
	v_fmamk_f32 v19, v28, 0xbe11bafb, v18
	v_fmamk_f32 v20, v22, 0x3f7d64f0, v21
	v_fma_f32 v24, 0xbe11bafb, v28, -v18
	v_fmac_f32_e32 v21, 0xbf7d64f0, v22
	v_fmac_f32_e32 v13, 0xbf4178ce, v22
	s_delay_alu instid0(VALU_DEP_4) | instskip(NEXT) | instid1(VALU_DEP_4)
	v_dual_add_f32 v18, v19, v26 :: v_dual_add_f32 v19, v20, v27
	v_dual_add_f32 v17, v17, v25 :: v_dual_add_f32 v20, v24, v31
	s_delay_alu instid0(VALU_DEP_4) | instskip(NEXT) | instid1(VALU_DEP_4)
	v_add_f32_e32 v21, v21, v32
	v_add_f32_e32 v13, v13, v23
	ds_store_2addr_b64 v57, v[2:3], v[0:1] offset1:13
	ds_store_2addr_b64 v57, v[6:7], v[10:11] offset0:26 offset1:39
	ds_store_2addr_b64 v57, v[14:15], v[18:19] offset0:52 offset1:65
	;; [unrolled: 1-line block ×4, first 2 shown]
	ds_store_b64 v57, v[4:5] offset:1040
	global_wb scope:SCOPE_SE
	s_wait_dscnt 0x0
	s_barrier_signal -1
	s_barrier_wait -1
	global_inv scope:SCOPE_SE
	s_and_b32 exec_lo, exec_lo, vcc_lo
	s_cbranch_execz .LBB0_15
; %bb.14:
	s_clause 0xb
	global_load_b64 v[24:25], v53, s[8:9]
	global_load_b64 v[26:27], v53, s[8:9] offset:88
	global_load_b64 v[28:29], v53, s[8:9] offset:176
	;; [unrolled: 1-line block ×11, first 2 shown]
	v_mad_co_u64_u32 v[12:13], null, s2, v44, 0
	v_mad_co_u64_u32 v[49:50], null, s0, v54, 0
	s_delay_alu instid0(VALU_DEP_2) | instskip(NEXT) | instid1(VALU_DEP_1)
	v_mov_b32_e32 v0, v13
	v_mad_co_u64_u32 v[8:9], null, s3, v44, v[0:1]
	ds_load_b64 v[51:52], v57
	ds_load_2addr_b64 v[0:3], v57 offset0:11 offset1:22
	v_mov_b32_e32 v4, v50
	s_mov_b32 s2, 0x55ee191
	s_mov_b32 s3, 0x3f7ca4b3
	v_mov_b32_e32 v13, v8
	ds_load_2addr_b64 v[8:11], v57 offset0:55 offset1:66
	s_wait_loadcnt_dscnt 0xb02
	v_mul_f32_e32 v44, v52, v25
	v_mul_f32_e32 v25, v51, v25
	v_mad_co_u64_u32 v[14:15], null, s1, v54, v[4:5]
	ds_load_2addr_b64 v[4:7], v57 offset0:33 offset1:44
	v_lshlrev_b64_e32 v[54:55], 3, v[12:13]
	s_wait_loadcnt_dscnt 0xa02
	v_mul_f32_e32 v56, v1, v27
	s_mul_u64 s[0:1], s[0:1], 0x58
	v_mul_f32_e32 v27, v0, v27
	s_wait_loadcnt_dscnt 0x601
	v_mul_f32_e32 v60, v9, v35
	v_mov_b32_e32 v50, v14
	ds_load_2addr_b64 v[12:15], v57 offset0:77 offset1:88
	ds_load_2addr_b64 v[16:19], v57 offset0:99 offset1:110
	;; [unrolled: 1-line block ×3, first 2 shown]
	v_mul_f32_e32 v57, v3, v29
	v_mul_f32_e32 v29, v2, v29
	;; [unrolled: 1-line block ×3, first 2 shown]
	s_wait_loadcnt 0x5
	v_mul_f32_e32 v61, v11, v37
	v_mul_f32_e32 v37, v10, v37
	v_dual_fmac_f32 v57, v2, v28 :: v_dual_fmac_f32 v60, v8, v34
	v_lshlrev_b64_e32 v[49:50], 3, v[49:50]
	v_add_co_u32 v54, vcc_lo, s12, v54
	v_add_co_ci_u32_e32 v55, vcc_lo, s13, v55, vcc_lo
	s_wait_dscnt 0x3
	v_mul_f32_e32 v58, v5, v31
	v_mul_f32_e32 v31, v4, v31
	;; [unrolled: 1-line block ×3, first 2 shown]
	v_dual_mul_f32 v33, v6, v33 :: v_dual_fmac_f32 v56, v0, v26
	s_wait_loadcnt_dscnt 0x101
	v_dual_mul_f32 v62, v13, v39 :: v_dual_mul_f32 v65, v19, v46
	v_dual_mul_f32 v39, v12, v39 :: v_dual_fmac_f32 v44, v51, v24
	v_fma_f32 v24, v24, v52, -v25
	v_mul_f32_e32 v63, v15, v41
	v_fma_f32 v25, v26, v1, -v27
	v_fma_f32 v26, v28, v3, -v29
	v_dual_mul_f32 v41, v14, v41 :: v_dual_fmac_f32 v58, v4, v30
	v_mul_f32_e32 v46, v18, v46
	v_fma_f32 v27, v30, v5, -v31
	v_mul_f32_e32 v64, v17, v43
	v_mul_f32_e32 v43, v16, v43
	v_dual_fmac_f32 v59, v6, v32 :: v_dual_fmac_f32 v62, v12, v38
	v_fma_f32 v28, v32, v7, -v33
	s_wait_loadcnt_dscnt 0x0
	v_mul_f32_e32 v66, v21, v48
	v_mul_f32_e32 v48, v20, v48
	v_fma_f32 v29, v34, v9, -v35
	v_cvt_f64_f32_e32 v[0:1], v44
	v_cvt_f64_f32_e32 v[2:3], v24
	v_dual_fmac_f32 v61, v10, v36 :: v_dual_fmac_f32 v64, v16, v42
	v_fma_f32 v30, v36, v11, -v37
	v_cvt_f64_f32_e32 v[4:5], v56
	v_cvt_f64_f32_e32 v[6:7], v25
	v_fma_f32 v32, v38, v13, -v39
	v_cvt_f64_f32_e32 v[8:9], v57
	v_cvt_f64_f32_e32 v[10:11], v26
	v_dual_fmac_f32 v63, v14, v40 :: v_dual_fmac_f32 v66, v20, v47
	v_fma_f32 v36, v40, v15, -v41
	v_cvt_f64_f32_e32 v[12:13], v58
	v_cvt_f64_f32_e32 v[14:15], v27
	v_fma_f32 v40, v42, v17, -v43
	v_fmac_f32_e32 v65, v18, v45
	v_fma_f32 v45, v45, v19, -v46
	v_cvt_f64_f32_e32 v[16:17], v59
	v_cvt_f64_f32_e32 v[18:19], v28
	v_fma_f32 v48, v47, v21, -v48
	v_cvt_f64_f32_e32 v[20:21], v60
	v_cvt_f64_f32_e32 v[24:25], v29
	;; [unrolled: 1-line block ×14, first 2 shown]
	v_add_co_u32 v48, vcc_lo, v54, v49
	s_wait_alu 0xfffd
	v_add_co_ci_u32_e32 v49, vcc_lo, v55, v50, vcc_lo
	s_wait_alu 0xfffe
	v_mul_f64_e32 v[0:1], s[2:3], v[0:1]
	v_mul_f64_e32 v[2:3], s[2:3], v[2:3]
	v_add_co_u32 v54, vcc_lo, v48, s0
	v_mul_f64_e32 v[4:5], s[2:3], v[4:5]
	v_mul_f64_e32 v[6:7], s[2:3], v[6:7]
	s_wait_alu 0xfffd
	v_add_co_ci_u32_e32 v55, vcc_lo, s1, v49, vcc_lo
	v_mul_f64_e32 v[8:9], s[2:3], v[8:9]
	v_mul_f64_e32 v[10:11], s[2:3], v[10:11]
	v_add_co_u32 v56, vcc_lo, v54, s0
	v_mul_f64_e32 v[12:13], s[2:3], v[12:13]
	v_mul_f64_e32 v[14:15], s[2:3], v[14:15]
	s_wait_alu 0xfffd
	v_add_co_ci_u32_e32 v57, vcc_lo, s1, v55, vcc_lo
	v_add_co_u32 v58, vcc_lo, v56, s0
	v_mul_f64_e32 v[16:17], s[2:3], v[16:17]
	v_mul_f64_e32 v[18:19], s[2:3], v[18:19]
	;; [unrolled: 1-line block ×16, first 2 shown]
	s_wait_alu 0xfffd
	v_add_co_ci_u32_e32 v59, vcc_lo, s1, v57, vcc_lo
	v_add_co_u32 v60, vcc_lo, v58, s0
	v_cvt_f32_f64_e32 v0, v[0:1]
	v_cvt_f32_f64_e32 v1, v[2:3]
	s_wait_alu 0xfffd
	v_add_co_ci_u32_e32 v61, vcc_lo, s1, v59, vcc_lo
	v_cvt_f32_f64_e32 v2, v[4:5]
	v_cvt_f32_f64_e32 v3, v[6:7]
	v_add_co_u32 v62, vcc_lo, v60, s0
	v_cvt_f32_f64_e32 v4, v[8:9]
	v_cvt_f32_f64_e32 v5, v[10:11]
	s_wait_alu 0xfffd
	v_add_co_ci_u32_e32 v63, vcc_lo, s1, v61, vcc_lo
	v_cvt_f32_f64_e32 v6, v[12:13]
	v_cvt_f32_f64_e32 v7, v[14:15]
	;; [unrolled: 1-line block ×18, first 2 shown]
	v_add_co_u32 v26, vcc_lo, v62, s0
	s_wait_alu 0xfffd
	v_add_co_ci_u32_e32 v27, vcc_lo, s1, v63, vcc_lo
	s_delay_alu instid0(VALU_DEP_2) | instskip(SKIP_1) | instid1(VALU_DEP_2)
	v_add_co_u32 v28, vcc_lo, v26, s0
	s_wait_alu 0xfffd
	v_add_co_ci_u32_e32 v29, vcc_lo, s1, v27, vcc_lo
	s_delay_alu instid0(VALU_DEP_2) | instskip(SKIP_1) | instid1(VALU_DEP_2)
	;; [unrolled: 4-line block ×5, first 2 shown]
	v_add_co_u32 v36, vcc_lo, v34, s0
	s_wait_alu 0xfffd
	v_add_co_ci_u32_e32 v37, vcc_lo, s1, v35, vcc_lo
	s_clause 0x4
	global_store_b64 v[48:49], v[0:1], off
	global_store_b64 v[54:55], v[2:3], off
	;; [unrolled: 1-line block ×12, first 2 shown]
	global_load_b64 v[0:1], v53, s[8:9] offset:1056
	s_wait_loadcnt 0x0
	v_mul_f32_e32 v2, v23, v1
	v_mul_f32_e32 v1, v22, v1
	s_delay_alu instid0(VALU_DEP_2) | instskip(NEXT) | instid1(VALU_DEP_2)
	v_fmac_f32_e32 v2, v22, v0
	v_fma_f32 v3, v0, v23, -v1
	s_delay_alu instid0(VALU_DEP_2) | instskip(NEXT) | instid1(VALU_DEP_2)
	v_cvt_f64_f32_e32 v[0:1], v2
	v_cvt_f64_f32_e32 v[2:3], v3
	s_delay_alu instid0(VALU_DEP_2) | instskip(NEXT) | instid1(VALU_DEP_2)
	v_mul_f64_e32 v[0:1], s[2:3], v[0:1]
	v_mul_f64_e32 v[2:3], s[2:3], v[2:3]
	s_delay_alu instid0(VALU_DEP_2) | instskip(NEXT) | instid1(VALU_DEP_2)
	v_cvt_f32_f64_e32 v0, v[0:1]
	v_cvt_f32_f64_e32 v1, v[2:3]
	v_add_co_u32 v2, vcc_lo, v36, s0
	s_wait_alu 0xfffd
	v_add_co_ci_u32_e32 v3, vcc_lo, s1, v37, vcc_lo
	global_store_b64 v[2:3], v[0:1], off
.LBB0_15:
	s_nop 0
	s_sendmsg sendmsg(MSG_DEALLOC_VGPRS)
	s_endpgm
	.section	.rodata,"a",@progbits
	.p2align	6, 0x0
	.amdhsa_kernel bluestein_single_back_len143_dim1_sp_op_CI_CI
		.amdhsa_group_segment_fixed_size 16016
		.amdhsa_private_segment_fixed_size 0
		.amdhsa_kernarg_size 104
		.amdhsa_user_sgpr_count 2
		.amdhsa_user_sgpr_dispatch_ptr 0
		.amdhsa_user_sgpr_queue_ptr 0
		.amdhsa_user_sgpr_kernarg_segment_ptr 1
		.amdhsa_user_sgpr_dispatch_id 0
		.amdhsa_user_sgpr_private_segment_size 0
		.amdhsa_wavefront_size32 1
		.amdhsa_uses_dynamic_stack 0
		.amdhsa_enable_private_segment 0
		.amdhsa_system_sgpr_workgroup_id_x 1
		.amdhsa_system_sgpr_workgroup_id_y 0
		.amdhsa_system_sgpr_workgroup_id_z 0
		.amdhsa_system_sgpr_workgroup_info 0
		.amdhsa_system_vgpr_workitem_id 0
		.amdhsa_next_free_vgpr 150
		.amdhsa_next_free_sgpr 14
		.amdhsa_reserve_vcc 1
		.amdhsa_float_round_mode_32 0
		.amdhsa_float_round_mode_16_64 0
		.amdhsa_float_denorm_mode_32 3
		.amdhsa_float_denorm_mode_16_64 3
		.amdhsa_fp16_overflow 0
		.amdhsa_workgroup_processor_mode 1
		.amdhsa_memory_ordered 1
		.amdhsa_forward_progress 0
		.amdhsa_round_robin_scheduling 0
		.amdhsa_exception_fp_ieee_invalid_op 0
		.amdhsa_exception_fp_denorm_src 0
		.amdhsa_exception_fp_ieee_div_zero 0
		.amdhsa_exception_fp_ieee_overflow 0
		.amdhsa_exception_fp_ieee_underflow 0
		.amdhsa_exception_fp_ieee_inexact 0
		.amdhsa_exception_int_div_zero 0
	.end_amdhsa_kernel
	.text
.Lfunc_end0:
	.size	bluestein_single_back_len143_dim1_sp_op_CI_CI, .Lfunc_end0-bluestein_single_back_len143_dim1_sp_op_CI_CI
                                        ; -- End function
	.section	.AMDGPU.csdata,"",@progbits
; Kernel info:
; codeLenInByte = 14404
; NumSgprs: 16
; NumVgprs: 150
; ScratchSize: 0
; MemoryBound: 0
; FloatMode: 240
; IeeeMode: 1
; LDSByteSize: 16016 bytes/workgroup (compile time only)
; SGPRBlocks: 1
; VGPRBlocks: 18
; NumSGPRsForWavesPerEU: 16
; NumVGPRsForWavesPerEU: 150
; Occupancy: 9
; WaveLimiterHint : 1
; COMPUTE_PGM_RSRC2:SCRATCH_EN: 0
; COMPUTE_PGM_RSRC2:USER_SGPR: 2
; COMPUTE_PGM_RSRC2:TRAP_HANDLER: 0
; COMPUTE_PGM_RSRC2:TGID_X_EN: 1
; COMPUTE_PGM_RSRC2:TGID_Y_EN: 0
; COMPUTE_PGM_RSRC2:TGID_Z_EN: 0
; COMPUTE_PGM_RSRC2:TIDIG_COMP_CNT: 0
	.text
	.p2alignl 7, 3214868480
	.fill 96, 4, 3214868480
	.type	__hip_cuid_cf2e25b151d21305,@object ; @__hip_cuid_cf2e25b151d21305
	.section	.bss,"aw",@nobits
	.globl	__hip_cuid_cf2e25b151d21305
__hip_cuid_cf2e25b151d21305:
	.byte	0                               ; 0x0
	.size	__hip_cuid_cf2e25b151d21305, 1

	.ident	"AMD clang version 19.0.0git (https://github.com/RadeonOpenCompute/llvm-project roc-6.4.0 25133 c7fe45cf4b819c5991fe208aaa96edf142730f1d)"
	.section	".note.GNU-stack","",@progbits
	.addrsig
	.addrsig_sym __hip_cuid_cf2e25b151d21305
	.amdgpu_metadata
---
amdhsa.kernels:
  - .args:
      - .actual_access:  read_only
        .address_space:  global
        .offset:         0
        .size:           8
        .value_kind:     global_buffer
      - .actual_access:  read_only
        .address_space:  global
        .offset:         8
        .size:           8
        .value_kind:     global_buffer
      - .actual_access:  read_only
        .address_space:  global
        .offset:         16
        .size:           8
        .value_kind:     global_buffer
      - .actual_access:  read_only
        .address_space:  global
        .offset:         24
        .size:           8
        .value_kind:     global_buffer
      - .actual_access:  read_only
        .address_space:  global
        .offset:         32
        .size:           8
        .value_kind:     global_buffer
      - .offset:         40
        .size:           8
        .value_kind:     by_value
      - .address_space:  global
        .offset:         48
        .size:           8
        .value_kind:     global_buffer
      - .address_space:  global
        .offset:         56
        .size:           8
        .value_kind:     global_buffer
      - .address_space:  global
        .offset:         64
        .size:           8
        .value_kind:     global_buffer
      - .address_space:  global
        .offset:         72
        .size:           8
        .value_kind:     global_buffer
      - .offset:         80
        .size:           4
        .value_kind:     by_value
      - .address_space:  global
        .offset:         88
        .size:           8
        .value_kind:     global_buffer
      - .address_space:  global
        .offset:         96
        .size:           8
        .value_kind:     global_buffer
    .group_segment_fixed_size: 16016
    .kernarg_segment_align: 8
    .kernarg_segment_size: 104
    .language:       OpenCL C
    .language_version:
      - 2
      - 0
    .max_flat_workgroup_size: 182
    .name:           bluestein_single_back_len143_dim1_sp_op_CI_CI
    .private_segment_fixed_size: 0
    .sgpr_count:     16
    .sgpr_spill_count: 0
    .symbol:         bluestein_single_back_len143_dim1_sp_op_CI_CI.kd
    .uniform_work_group_size: 1
    .uses_dynamic_stack: false
    .vgpr_count:     150
    .vgpr_spill_count: 0
    .wavefront_size: 32
    .workgroup_processor_mode: 1
amdhsa.target:   amdgcn-amd-amdhsa--gfx1201
amdhsa.version:
  - 1
  - 2
...

	.end_amdgpu_metadata
